;; amdgpu-corpus repo=ROCm/rocFFT kind=compiled arch=gfx906 opt=O3
	.text
	.amdgcn_target "amdgcn-amd-amdhsa--gfx906"
	.amdhsa_code_object_version 6
	.protected	bluestein_single_back_len1224_dim1_half_op_CI_CI ; -- Begin function bluestein_single_back_len1224_dim1_half_op_CI_CI
	.globl	bluestein_single_back_len1224_dim1_half_op_CI_CI
	.p2align	8
	.type	bluestein_single_back_len1224_dim1_half_op_CI_CI,@function
bluestein_single_back_len1224_dim1_half_op_CI_CI: ; @bluestein_single_back_len1224_dim1_half_op_CI_CI
; %bb.0:
	s_load_dwordx4 s[0:3], s[4:5], 0x28
	v_mul_u32_u24_e32 v1, 0x283, v0
	v_lshrrev_b32_e32 v1, 16, v1
	v_lshl_add_u32 v17, s6, 1, v1
	v_mov_b32_e32 v18, 0
	s_waitcnt lgkmcnt(0)
	v_cmp_gt_u64_e32 vcc, s[0:1], v[17:18]
	s_and_saveexec_b64 s[0:1], vcc
	s_cbranch_execz .LBB0_15
; %bb.1:
	s_load_dwordx2 s[6:7], s[4:5], 0x0
	s_load_dwordx2 s[12:13], s[4:5], 0x38
	v_mul_lo_u16_e32 v2, 0x66, v1
	v_sub_u16_e32 v42, v0, v2
	v_and_b32_e32 v0, 1, v1
	v_mov_b32_e32 v1, 0x4c8
	v_cmp_eq_u32_e32 vcc, 1, v0
	v_cndmask_b32_e32 v22, 0, v1, vcc
	s_movk_i32 s0, 0x48
	v_cmp_gt_u16_e32 vcc, s0, v42
	v_lshlrev_b32_e32 v43, 2, v42
	v_lshlrev_b32_e32 v45, 2, v22
	s_and_saveexec_b64 s[14:15], vcc
	s_cbranch_execz .LBB0_3
; %bb.2:
	s_load_dwordx2 s[0:1], s[4:5], 0x18
	v_lshl_add_u32 v13, v42, 2, v45
	v_add_u32_e32 v14, v45, v43
	v_or_b32_e32 v19, 0x480, v42
	v_lshlrev_b32_e32 v20, 2, v19
	s_waitcnt lgkmcnt(0)
	s_load_dwordx4 s[8:11], s[0:1], 0x0
	v_mov_b32_e32 v12, s7
	s_waitcnt lgkmcnt(0)
	v_mad_u64_u32 v[0:1], s[0:1], s10, v17, 0
	v_mad_u64_u32 v[2:3], s[0:1], s8, v42, 0
	;; [unrolled: 1-line block ×4, first 2 shown]
	v_mov_b32_e32 v1, v4
	v_lshlrev_b64 v[0:1], 2, v[0:1]
	v_mov_b32_e32 v3, v5
	v_mov_b32_e32 v6, s3
	v_lshlrev_b64 v[2:3], 2, v[2:3]
	v_add_co_u32_e64 v7, s[0:1], s2, v0
	v_addc_co_u32_e64 v6, s[0:1], v6, v1, s[0:1]
	v_add_co_u32_e64 v0, s[0:1], v7, v2
	v_addc_co_u32_e64 v1, s[0:1], v6, v3, s[0:1]
	s_mul_i32 s0, s9, 0x120
	s_mul_hi_u32 s2, s8, 0x120
	s_add_i32 s2, s2, s0
	s_mul_i32 s3, s8, 0x120
	v_mov_b32_e32 v3, s2
	v_add_co_u32_e64 v2, s[0:1], s3, v0
	v_addc_co_u32_e64 v3, s[0:1], v1, v3, s[0:1]
	global_load_dword v4, v[0:1], off
	global_load_dword v5, v[2:3], off
	global_load_dword v8, v43, s[6:7]
	global_load_dword v9, v43, s[6:7] offset:288
	v_mov_b32_e32 v1, s2
	v_add_co_u32_e64 v0, s[0:1], s3, v2
	v_addc_co_u32_e64 v1, s[0:1], v3, v1, s[0:1]
	global_load_dword v2, v[0:1], off
	global_load_dword v3, v43, s[6:7] offset:576
	v_mov_b32_e32 v10, s2
	v_add_co_u32_e64 v0, s[0:1], s3, v0
	v_addc_co_u32_e64 v1, s[0:1], v1, v10, s[0:1]
	global_load_dword v10, v[0:1], off
	global_load_dword v11, v43, s[6:7] offset:864
	v_mov_b32_e32 v21, s2
	v_add_co_u32_e64 v0, s[0:1], s3, v0
	v_addc_co_u32_e64 v1, s[0:1], v1, v21, s[0:1]
	global_load_dword v15, v43, s[6:7] offset:1152
	global_load_dword v16, v43, s[6:7] offset:1440
	;; [unrolled: 1-line block ×3, first 2 shown]
	global_load_dword v21, v[0:1], off
	v_mov_b32_e32 v23, s2
	v_add_co_u32_e64 v0, s[0:1], s3, v0
	v_addc_co_u32_e64 v1, s[0:1], v1, v23, s[0:1]
	global_load_dword v23, v[0:1], off
	v_mov_b32_e32 v24, s2
	v_add_co_u32_e64 v0, s[0:1], s3, v0
	v_addc_co_u32_e64 v1, s[0:1], v1, v24, s[0:1]
	v_mov_b32_e32 v25, s2
	global_load_dword v24, v[0:1], off
	v_add_co_u32_e64 v0, s[0:1], s3, v0
	v_addc_co_u32_e64 v1, s[0:1], v1, v25, s[0:1]
	global_load_dword v25, v[0:1], off
	v_add_co_u32_e64 v0, s[0:1], s3, v0
	global_load_dword v20, v20, s[6:7]
	s_waitcnt vmcnt(15)
	v_lshrrev_b32_e32 v26, 16, v4
	s_waitcnt vmcnt(13)
	v_mul_f16_sdwa v27, v8, v4 dst_sel:DWORD dst_unused:UNUSED_PAD src0_sel:WORD_1 src1_sel:DWORD
	v_mul_f16_sdwa v28, v8, v26 dst_sel:DWORD dst_unused:UNUSED_PAD src0_sel:WORD_1 src1_sel:DWORD
	v_fma_f16 v26, v8, v26, -v27
	v_lshrrev_b32_e32 v27, 16, v5
	s_waitcnt vmcnt(12)
	v_mul_f16_sdwa v29, v9, v5 dst_sel:DWORD dst_unused:UNUSED_PAD src0_sel:WORD_1 src1_sel:DWORD
	v_fma_f16 v4, v8, v4, v28
	v_mul_f16_sdwa v8, v9, v27 dst_sel:DWORD dst_unused:UNUSED_PAD src0_sel:WORD_1 src1_sel:DWORD
	s_waitcnt vmcnt(11)
	v_lshrrev_b32_e32 v28, 16, v2
	v_fma_f16 v27, v9, v27, -v29
	s_waitcnt vmcnt(10)
	v_mul_f16_sdwa v29, v3, v2 dst_sel:DWORD dst_unused:UNUSED_PAD src0_sel:WORD_1 src1_sel:DWORD
	v_fma_f16 v5, v9, v5, v8
	v_mul_f16_sdwa v8, v3, v28 dst_sel:DWORD dst_unused:UNUSED_PAD src0_sel:WORD_1 src1_sel:DWORD
	v_pack_b32_f16 v4, v4, v26
	v_fma_f16 v9, v3, v28, -v29
	v_fma_f16 v2, v3, v2, v8
	ds_write_b32 v13, v4
	v_pack_b32_f16 v4, v5, v27
	v_pack_b32_f16 v2, v2, v9
	ds_write2_b32 v14, v4, v2 offset0:72 offset1:144
	v_mov_b32_e32 v2, s2
	v_addc_co_u32_e64 v1, s[0:1], v1, v2, s[0:1]
	s_waitcnt vmcnt(9)
	v_lshrrev_b32_e32 v26, 16, v10
	global_load_dword v9, v[0:1], off
	v_add_co_u32_e64 v0, s[0:1], s3, v0
	s_waitcnt vmcnt(9)
	v_mul_f16_sdwa v3, v11, v26 dst_sel:DWORD dst_unused:UNUSED_PAD src0_sel:WORD_1 src1_sel:DWORD
	v_addc_co_u32_e64 v1, s[0:1], v1, v2, s[0:1]
	v_mul_f16_sdwa v28, v11, v10 dst_sel:DWORD dst_unused:UNUSED_PAD src0_sel:WORD_1 src1_sel:DWORD
	v_fma_f16 v3, v11, v10, v3
	global_load_dword v10, v[0:1], off
	v_add_co_u32_e64 v0, s[0:1], s3, v0
	v_addc_co_u32_e64 v1, s[0:1], v1, v2, s[0:1]
	v_fma_f16 v5, v11, v26, -v28
	global_load_dword v11, v[0:1], off
	global_load_dword v13, v43, s[6:7] offset:2016
	global_load_dword v26, v43, s[6:7] offset:2304
	;; [unrolled: 1-line block ×4, first 2 shown]
	v_add_co_u32_e64 v0, s[0:1], s3, v0
	v_addc_co_u32_e64 v1, s[0:1], v1, v2, s[0:1]
	global_load_dword v29, v[0:1], off
	v_add_co_u32_e64 v0, s[0:1], s3, v0
	v_pack_b32_f16 v8, v3, v5
	v_addc_co_u32_e64 v1, s[0:1], v1, v2, s[0:1]
	v_mad_u64_u32 v[2:3], s[0:1], s8, v19, 0
	global_load_dword v30, v[0:1], off
	v_mov_b32_e32 v4, s2
	v_add_co_u32_e64 v0, s[0:1], s3, v0
	v_addc_co_u32_e64 v1, s[0:1], v1, v4, s[0:1]
	v_mad_u64_u32 v[3:4], s[0:1], s9, v19, v[3:4]
	v_mov_b32_e32 v5, s2
	v_add_co_u32_e64 v4, s[0:1], s3, v0
	v_addc_co_u32_e64 v5, s[0:1], v1, v5, s[0:1]
	global_load_dword v19, v43, s[6:7] offset:3168
	global_load_dword v31, v[0:1], off
                                        ; kill: killed $vgpr0 killed $vgpr1
	global_load_dword v32, v43, s[6:7] offset:3456
	global_load_dword v33, v43, s[6:7] offset:3744
	v_lshlrev_b64 v[0:1], 2, v[2:3]
	v_mov_b32_e32 v3, s2
	v_add_co_u32_e64 v0, s[0:1], v7, v0
	v_addc_co_u32_e64 v1, s[0:1], v6, v1, s[0:1]
	v_add_co_u32_e64 v2, s[0:1], s3, v4
	v_addc_co_u32_e64 v3, s[0:1], v5, v3, s[0:1]
	;; [unrolled: 2-line block ×3, first 2 shown]
	global_load_dword v12, v[4:5], off
	global_load_dword v34, v43, s[6:7] offset:4032
	global_load_dword v35, v[2:3], off
	s_movk_i32 s0, 0x1000
	v_add_co_u32_e64 v2, s[0:1], s0, v6
	v_addc_co_u32_e64 v3, s[0:1], 0, v7, s[0:1]
	global_load_dword v2, v[2:3], off offset:224
	s_waitcnt vmcnt(21)
	v_lshrrev_b32_e32 v3, 16, v21
	global_load_dword v0, v[0:1], off
	v_mul_f16_sdwa v4, v15, v3 dst_sel:DWORD dst_unused:UNUSED_PAD src0_sel:WORD_1 src1_sel:DWORD
	v_mul_f16_sdwa v5, v15, v21 dst_sel:DWORD dst_unused:UNUSED_PAD src0_sel:WORD_1 src1_sel:DWORD
	v_fma_f16 v4, v15, v21, v4
	v_fma_f16 v1, v15, v3, -v5
	v_pack_b32_f16 v1, v4, v1
	v_add_u32_e32 v3, 0x200, v14
	ds_write2_b32 v3, v8, v1 offset0:88 offset1:160
	s_waitcnt vmcnt(21)
	v_lshrrev_b32_e32 v1, 16, v23
	v_mul_f16_sdwa v3, v16, v1 dst_sel:DWORD dst_unused:UNUSED_PAD src0_sel:WORD_1 src1_sel:DWORD
	v_mul_f16_sdwa v4, v16, v23 dst_sel:DWORD dst_unused:UNUSED_PAD src0_sel:WORD_1 src1_sel:DWORD
	v_fma_f16 v3, v16, v23, v3
	v_fma_f16 v1, v16, v1, -v4
	v_pack_b32_f16 v1, v3, v1
	s_waitcnt vmcnt(20)
	v_lshrrev_b32_e32 v3, 16, v24
	v_mul_f16_sdwa v4, v18, v3 dst_sel:DWORD dst_unused:UNUSED_PAD src0_sel:WORD_1 src1_sel:DWORD
	v_mul_f16_sdwa v5, v18, v24 dst_sel:DWORD dst_unused:UNUSED_PAD src0_sel:WORD_1 src1_sel:DWORD
	v_fma_f16 v4, v18, v24, v4
	v_fma_f16 v3, v18, v3, -v5
	v_pack_b32_f16 v3, v4, v3
	v_add_u32_e32 v4, 0x400, v14
	ds_write2_b32 v4, v1, v3 offset0:104 offset1:176
	s_waitcnt vmcnt(19)
	v_lshrrev_b32_e32 v1, 16, v25
	s_waitcnt vmcnt(14)
	v_mul_f16_sdwa v3, v13, v1 dst_sel:DWORD dst_unused:UNUSED_PAD src0_sel:WORD_1 src1_sel:DWORD
	v_mul_f16_sdwa v4, v13, v25 dst_sel:DWORD dst_unused:UNUSED_PAD src0_sel:WORD_1 src1_sel:DWORD
	v_fma_f16 v3, v13, v25, v3
	v_fma_f16 v1, v13, v1, -v4
	v_pack_b32_f16 v1, v3, v1
	v_lshrrev_b32_e32 v3, 16, v9
	s_waitcnt vmcnt(13)
	v_mul_f16_sdwa v4, v26, v3 dst_sel:DWORD dst_unused:UNUSED_PAD src0_sel:WORD_1 src1_sel:DWORD
	v_mul_f16_sdwa v5, v26, v9 dst_sel:DWORD dst_unused:UNUSED_PAD src0_sel:WORD_1 src1_sel:DWORD
	v_fma_f16 v4, v26, v9, v4
	v_fma_f16 v3, v26, v3, -v5
	v_pack_b32_f16 v3, v4, v3
	v_add_u32_e32 v4, 0x600, v14
	ds_write2_b32 v4, v1, v3 offset0:120 offset1:192
	v_lshrrev_b32_e32 v1, 16, v10
	s_waitcnt vmcnt(12)
	v_mul_f16_sdwa v3, v27, v1 dst_sel:DWORD dst_unused:UNUSED_PAD src0_sel:WORD_1 src1_sel:DWORD
	v_mul_f16_sdwa v4, v27, v10 dst_sel:DWORD dst_unused:UNUSED_PAD src0_sel:WORD_1 src1_sel:DWORD
	v_fma_f16 v3, v27, v10, v3
	v_fma_f16 v1, v27, v1, -v4
	v_pack_b32_f16 v1, v3, v1
	v_lshrrev_b32_e32 v3, 16, v11
	s_waitcnt vmcnt(11)
	v_mul_f16_sdwa v4, v28, v3 dst_sel:DWORD dst_unused:UNUSED_PAD src0_sel:WORD_1 src1_sel:DWORD
	v_mul_f16_sdwa v5, v28, v11 dst_sel:DWORD dst_unused:UNUSED_PAD src0_sel:WORD_1 src1_sel:DWORD
	v_fma_f16 v4, v28, v11, v4
	v_fma_f16 v3, v28, v3, -v5
	v_pack_b32_f16 v3, v4, v3
	v_add_u32_e32 v4, 0x800, v14
	ds_write2_b32 v4, v1, v3 offset0:136 offset1:208
	s_waitcnt vmcnt(10)
	v_lshrrev_b32_e32 v1, 16, v29
	s_waitcnt vmcnt(8)
	v_mul_f16_sdwa v3, v19, v1 dst_sel:DWORD dst_unused:UNUSED_PAD src0_sel:WORD_1 src1_sel:DWORD
	v_mul_f16_sdwa v4, v19, v29 dst_sel:DWORD dst_unused:UNUSED_PAD src0_sel:WORD_1 src1_sel:DWORD
	v_fma_f16 v3, v19, v29, v3
	v_fma_f16 v1, v19, v1, -v4
	v_pack_b32_f16 v1, v3, v1
	v_lshrrev_b32_e32 v3, 16, v30
	s_waitcnt vmcnt(6)
	v_mul_f16_sdwa v4, v32, v3 dst_sel:DWORD dst_unused:UNUSED_PAD src0_sel:WORD_1 src1_sel:DWORD
	v_mul_f16_sdwa v5, v32, v30 dst_sel:DWORD dst_unused:UNUSED_PAD src0_sel:WORD_1 src1_sel:DWORD
	v_fma_f16 v4, v32, v30, v4
	v_fma_f16 v3, v32, v3, -v5
	v_pack_b32_f16 v3, v4, v3
	v_add_u32_e32 v4, 0xc00, v14
	ds_write2_b32 v4, v1, v3 offset0:24 offset1:96
	v_lshrrev_b32_e32 v1, 16, v31
	s_waitcnt vmcnt(5)
	v_mul_f16_sdwa v3, v33, v1 dst_sel:DWORD dst_unused:UNUSED_PAD src0_sel:WORD_1 src1_sel:DWORD
	v_mul_f16_sdwa v5, v33, v31 dst_sel:DWORD dst_unused:UNUSED_PAD src0_sel:WORD_1 src1_sel:DWORD
	v_fma_f16 v3, v33, v31, v3
	v_fma_f16 v1, v33, v1, -v5
	v_pack_b32_f16 v1, v3, v1
	s_waitcnt vmcnt(4)
	v_lshrrev_b32_e32 v3, 16, v12
	s_waitcnt vmcnt(3)
	v_mul_f16_sdwa v5, v34, v3 dst_sel:DWORD dst_unused:UNUSED_PAD src0_sel:WORD_1 src1_sel:DWORD
	v_mul_f16_sdwa v6, v34, v12 dst_sel:DWORD dst_unused:UNUSED_PAD src0_sel:WORD_1 src1_sel:DWORD
	v_fma_f16 v5, v34, v12, v5
	v_fma_f16 v3, v34, v3, -v6
	v_pack_b32_f16 v3, v5, v3
	ds_write2_b32 v4, v1, v3 offset0:168 offset1:240
	s_waitcnt vmcnt(2)
	v_lshrrev_b32_e32 v1, 16, v35
	s_waitcnt vmcnt(1)
	v_mul_f16_sdwa v3, v2, v1 dst_sel:DWORD dst_unused:UNUSED_PAD src0_sel:WORD_1 src1_sel:DWORD
	v_mul_f16_sdwa v4, v2, v35 dst_sel:DWORD dst_unused:UNUSED_PAD src0_sel:WORD_1 src1_sel:DWORD
	v_fma_f16 v3, v2, v35, v3
	v_fma_f16 v1, v2, v1, -v4
	s_waitcnt vmcnt(0)
	v_lshrrev_b32_e32 v2, 16, v0
	v_pack_b32_f16 v1, v3, v1
	v_mul_f16_sdwa v3, v20, v2 dst_sel:DWORD dst_unused:UNUSED_PAD src0_sel:WORD_1 src1_sel:DWORD
	v_fma_f16 v3, v20, v0, v3
	v_mul_f16_sdwa v0, v20, v0 dst_sel:DWORD dst_unused:UNUSED_PAD src0_sel:WORD_1 src1_sel:DWORD
	v_fma_f16 v0, v20, v2, -v0
	v_pack_b32_f16 v0, v3, v0
	v_add_u32_e32 v2, 0x1000, v14
	ds_write2_b32 v2, v1, v0 offset0:56 offset1:128
.LBB0_3:
	s_or_b64 exec, exec, s[14:15]
	s_load_dwordx2 s[0:1], s[4:5], 0x20
	s_load_dwordx2 s[2:3], s[4:5], 0x8
	v_mov_b32_e32 v0, 0
	s_waitcnt lgkmcnt(0)
	s_barrier
	s_waitcnt lgkmcnt(0)
                                        ; implicit-def: $vgpr16
                                        ; implicit-def: $vgpr11
                                        ; implicit-def: $vgpr9
                                        ; implicit-def: $vgpr7
                                        ; implicit-def: $vgpr5
                                        ; implicit-def: $vgpr3
                                        ; implicit-def: $vgpr13
                                        ; implicit-def: $vgpr15
                                        ; implicit-def: $vgpr63
	s_and_saveexec_b64 s[4:5], vcc
	s_cbranch_execz .LBB0_5
; %bb.4:
	v_lshl_add_u32 v16, v22, 2, v43
	ds_read2_b32 v[0:1], v16 offset1:72
	ds_read2_b32 v[14:15], v16 offset0:144 offset1:216
	v_add_u32_e32 v2, 0x400, v16
	v_add_u32_e32 v4, 0x800, v16
	;; [unrolled: 1-line block ×5, first 2 shown]
	ds_read2_b32 v[12:13], v2 offset0:32 offset1:104
	ds_read2_b32 v[2:3], v2 offset0:176 offset1:248
	;; [unrolled: 1-line block ×6, first 2 shown]
	ds_read_b32 v16, v16 offset:4608
	s_waitcnt lgkmcnt(7)
	v_alignbit_b32 v63, v14, v14, 16
.LBB0_5:
	s_or_b64 exec, exec, s[4:5]
	s_waitcnt lgkmcnt(0)
	v_pk_add_f16 v14, v1, v16 neg_lo:[0,1] neg_hi:[0,1]
	s_mov_b32 s25, 0xbb29
	v_pk_add_f16 v24, v16, v1
	s_movk_i32 s8, 0x3722
	v_mul_f16_sdwa v31, v14, s25 dst_sel:DWORD dst_unused:UNUSED_PAD src0_sel:WORD_1 src1_sel:DWORD
	s_mov_b32 s23, 0xbbf7
	v_pk_add_f16 v25, v11, v63 op_sel:[1,0] op_sel_hi:[0,1]
	v_pk_add_f16 v26, v63, v11 op_sel:[1,0] op_sel_hi:[0,1] neg_lo:[0,1] neg_hi:[0,1]
	s_mov_b32 s11, 0xba62
	v_fma_f16 v18, v24, s8, v31
	s_movk_i32 s9, 0x2de8
	v_mul_f16_sdwa v36, v14, s23 dst_sel:DWORD dst_unused:UNUSED_PAD src0_sel:WORD_1 src1_sel:DWORD
	v_lshrrev_b32_e32 v54, 16, v25
	s_mov_b32 s15, 0xb8d2
	v_mul_f16_sdwa v34, v26, s11 dst_sel:DWORD dst_unused:UNUSED_PAD src0_sel:WORD_1 src1_sel:DWORD
	s_mov_b32 s14, 0xb1e1
	v_add_f16_e32 v18, v18, v0
	v_fma_f16 v19, v24, s9, v36
	v_fma_f16 v20, v54, s15, v34
	s_mov_b32 s16, 0xbbdd
	v_mul_f16_sdwa v40, v26, s14 dst_sel:DWORD dst_unused:UNUSED_PAD src0_sel:WORD_1 src1_sel:DWORD
	v_pk_add_f16 v27, v15, v10 neg_lo:[0,1] neg_hi:[0,1]
	s_movk_i32 s27, 0x31e1
	v_add_f16_e32 v19, v19, v0
	v_add_f16_e32 v18, v20, v18
	v_fma_f16 v20, v54, s16, v40
	v_pk_add_f16 v28, v10, v15
	v_mul_f16_sdwa v38, v27, s27 dst_sel:DWORD dst_unused:UNUSED_PAD src0_sel:WORD_1 src1_sel:DWORD
	s_movk_i32 s26, 0x3bb2
	s_mov_b32 s10, 0xb461
	v_add_f16_e32 v19, v20, v19
	v_fma_f16 v20, v28, s16, v38
	v_mul_f16_sdwa v53, v27, s26 dst_sel:DWORD dst_unused:UNUSED_PAD src0_sel:WORD_1 src1_sel:DWORD
	v_pk_add_f16 v29, v12, v9 neg_lo:[0,1] neg_hi:[0,1]
	v_add_f16_e32 v18, v20, v18
	v_fma_f16 v20, v28, s10, v53
	v_pk_add_f16 v30, v9, v12
	v_mul_f16_sdwa v44, v29, s26 dst_sel:DWORD dst_unused:UNUSED_PAD src0_sel:WORD_1 src1_sel:DWORD
	s_movk_i32 s20, 0x35c8
	v_add_f16_e32 v19, v20, v19
	v_fma_f16 v20, v30, s10, v44
	s_movk_i32 s17, 0x3b76
	v_mul_f16_sdwa v57, v29, s20 dst_sel:DWORD dst_unused:UNUSED_PAD src0_sel:WORD_1 src1_sel:DWORD
	s_movk_i32 s18, 0x3964
	v_pk_add_f16 v32, v13, v8 neg_lo:[0,1] neg_hi:[0,1]
	v_add_f16_e32 v18, v20, v18
	v_fma_f16 v20, v30, s17, v57
	s_movk_i32 s19, 0x39e9
	v_pk_add_f16 v33, v8, v13
	v_mul_f16_sdwa v56, v32, s18 dst_sel:DWORD dst_unused:UNUSED_PAD src0_sel:WORD_1 src1_sel:DWORD
	v_add_f16_e32 v19, v20, v19
	v_fma_f16 v20, v33, s19, v56
	v_mul_f16_sdwa v59, v32, s25 dst_sel:DWORD dst_unused:UNUSED_PAD src0_sel:WORD_1 src1_sel:DWORD
	s_mov_b32 s29, 0xb5c8
	v_pk_add_f16 v35, v2, v7 neg_lo:[0,1] neg_hi:[0,1]
	v_add_f16_e32 v18, v20, v18
	v_fma_f16 v20, v33, s8, v59
	v_pk_add_f16 v37, v7, v2
	v_mul_f16_sdwa v58, v35, s29 dst_sel:DWORD dst_unused:UNUSED_PAD src0_sel:WORD_1 src1_sel:DWORD
	s_mov_b32 s21, 0xb836
	v_add_f16_e32 v19, v20, v19
	v_fma_f16 v20, v37, s17, v58
	s_mov_b32 s22, 0xbacd
	v_mul_f16_sdwa v61, v35, s21 dst_sel:DWORD dst_unused:UNUSED_PAD src0_sel:WORD_1 src1_sel:DWORD
	v_pk_add_f16 v39, v3, v6 neg_lo:[0,1] neg_hi:[0,1]
	v_add_f16_e32 v18, v20, v18
	v_fma_f16 v20, v37, s22, v61
	v_pk_add_f16 v41, v6, v3
	v_mul_f16_sdwa v60, v39, s23 dst_sel:DWORD dst_unused:UNUSED_PAD src0_sel:WORD_1 src1_sel:DWORD
	s_movk_i32 s31, 0x3a62
	v_add_f16_e32 v19, v20, v19
	v_fma_f16 v20, v41, s9, v60
	v_mul_f16_sdwa v65, v39, s31 dst_sel:DWORD dst_unused:UNUSED_PAD src0_sel:WORD_1 src1_sel:DWORD
	v_pk_add_f16 v52, v4, v5 neg_lo:[0,1] neg_hi:[0,1]
	v_add_f16_e32 v18, v20, v18
	v_fma_f16 v20, v41, s15, v65
	v_pk_add_f16 v55, v5, v4
	v_mul_f16_sdwa v66, v52, s21 dst_sel:DWORD dst_unused:UNUSED_PAD src0_sel:WORD_1 src1_sel:DWORD
	v_add_f16_e32 v20, v20, v19
	v_fma_f16 v19, v55, s22, v66
	v_mul_f16_sdwa v71, v52, s18 dst_sel:DWORD dst_unused:UNUSED_PAD src0_sel:WORD_1 src1_sel:DWORD
	v_add_f16_e32 v19, v19, v18
	v_fma_f16 v18, v55, s19, v71
	v_mul_f16_sdwa v62, v14, s29 dst_sel:DWORD dst_unused:UNUSED_PAD src0_sel:WORD_1 src1_sel:DWORD
	s_mov_b32 s33, 0xb964
	v_add_f16_e32 v18, v18, v20
	v_fma_f16 v20, v24, s17, v62
	v_mul_f16_sdwa v64, v26, s33 dst_sel:DWORD dst_unused:UNUSED_PAD src0_sel:WORD_1 src1_sel:DWORD
	v_add_f16_e32 v20, v20, v0
	v_fma_f16 v21, v54, s19, v64
	v_lshrrev_b32_e32 v126, 16, v24
	v_mul_f16_e32 v67, 0xb964, v14
	v_add_f16_e32 v20, v21, v20
	v_fma_f16 v21, v126, s19, -v67
	v_mul_f16_e32 v68, 0xbbf7, v26
	v_add_f16_sdwa v21, v21, v0 dst_sel:DWORD dst_unused:UNUSED_PAD src0_sel:DWORD src1_sel:WORD_1
	v_fma_f16 v23, v25, s9, -v68
	v_mul_f16_e32 v74, 0xbb29, v14
	v_add_f16_e32 v21, v23, v21
	v_fma_f16 v23, v126, s8, -v74
	v_mul_f16_e32 v75, 0xba62, v26
	v_add_f16_sdwa v23, v23, v0 dst_sel:DWORD dst_unused:UNUSED_PAD src0_sel:DWORD src1_sel:WORD_1
	v_fma_f16 v46, v25, s15, -v75
	v_mul_f16_e32 v81, 0xbbf7, v14
	v_add_f16_e32 v23, v46, v23
	v_fma_f16 v46, v126, s9, -v81
	v_mul_f16_e32 v82, 0xb1e1, v26
	s_mov_b32 s24, 0xbbb2
	v_add_f16_sdwa v46, v46, v0 dst_sel:DWORD dst_unused:UNUSED_PAD src0_sel:DWORD src1_sel:WORD_1
	v_fma_f16 v47, v25, s16, -v82
	v_mul_f16_sdwa v85, v14, s24 dst_sel:DWORD dst_unused:UNUSED_PAD src0_sel:WORD_1 src1_sel:DWORD
	s_movk_i32 s34, 0x3836
	v_add_f16_e32 v46, v47, v46
	v_fma_f16 v47, v24, s10, v85
	v_mul_f16_sdwa v86, v26, s34 dst_sel:DWORD dst_unused:UNUSED_PAD src0_sel:WORD_1 src1_sel:DWORD
	v_add_f16_e32 v47, v47, v0
	v_fma_f16 v48, v54, s22, v86
	v_mul_f16_e32 v94, 0xbbb2, v14
	v_add_f16_e32 v47, v48, v47
	v_fma_f16 v48, v126, s10, -v94
	v_mul_f16_e32 v95, 0x3836, v26
	v_add_f16_sdwa v48, v48, v0 dst_sel:DWORD dst_unused:UNUSED_PAD src0_sel:DWORD src1_sel:WORD_1
	v_fma_f16 v49, v25, s22, -v95
	v_mul_f16_sdwa v69, v27, s25 dst_sel:DWORD dst_unused:UNUSED_PAD src0_sel:WORD_1 src1_sel:DWORD
	v_add_f16_e32 v48, v49, v48
	v_fma_f16 v49, v28, s8, v69
	v_lshrrev_b32_e32 v129, 16, v28
	v_mul_f16_e32 v72, 0xba62, v27
	v_add_f16_e32 v20, v49, v20
	v_fma_f16 v49, v129, s15, -v72
	v_mul_f16_e32 v79, 0x31e1, v27
	v_add_f16_e32 v21, v49, v21
	v_fma_f16 v49, v129, s16, -v79
	v_mul_f16_e32 v89, 0x3bb2, v27
	v_add_f16_e32 v23, v49, v23
	v_fma_f16 v49, v129, s10, -v89
	v_mul_f16_sdwa v93, v27, s18 dst_sel:DWORD dst_unused:UNUSED_PAD src0_sel:WORD_1 src1_sel:DWORD
	v_add_f16_e32 v46, v49, v46
	v_fma_f16 v49, v28, s19, v93
	v_mul_f16_e32 v104, 0x3964, v27
	v_add_f16_e32 v47, v49, v47
	v_fma_f16 v49, v129, s19, -v104
	v_mul_f16_sdwa v70, v29, s23 dst_sel:DWORD dst_unused:UNUSED_PAD src0_sel:WORD_1 src1_sel:DWORD
	v_add_f16_e32 v48, v49, v48
	v_fma_f16 v49, v30, s9, v70
	v_lshrrev_b32_e32 v130, 16, v30
	v_mul_f16_e32 v76, 0xb1e1, v29
	v_add_f16_e32 v20, v49, v20
	v_fma_f16 v49, v130, s16, -v76
	v_mul_f16_e32 v84, 0x3bb2, v29
	v_add_f16_e32 v21, v49, v21
	v_fma_f16 v49, v130, s10, -v84
	v_mul_f16_e32 v92, 0x35c8, v29
	v_add_f16_e32 v23, v49, v23
	v_fma_f16 v49, v130, s17, -v92
	v_mul_f16_sdwa v102, v29, s25 dst_sel:DWORD dst_unused:UNUSED_PAD src0_sel:WORD_1 src1_sel:DWORD
	v_add_f16_e32 v46, v49, v46
	v_fma_f16 v49, v30, s8, v102
	v_mul_f16_e32 v110, 0xbb29, v29
	v_add_f16_e32 v47, v49, v47
	;; [unrolled: 19-line block ×3, first 2 shown]
	v_fma_f16 v49, v132, s16, -v122
	v_mul_f16_sdwa v77, v35, s11 dst_sel:DWORD dst_unused:UNUSED_PAD src0_sel:WORD_1 src1_sel:DWORD
	v_add_f16_e32 v48, v49, v48
	v_fma_f16 v49, v37, s15, v77
	v_lshrrev_b32_e32 v134, 16, v37
	v_mul_f16_e32 v83, 0x3bb2, v35
	v_add_f16_e32 v20, v49, v20
	v_fma_f16 v49, v134, s10, -v83
	v_mul_f16_e32 v91, 0xb5c8, v35
	v_add_f16_e32 v21, v49, v21
	v_fma_f16 v49, v134, s17, -v91
	v_mul_f16_e32 v108, 0xb836, v35
	s_movk_i32 s28, 0x3bf7
	v_add_f16_e32 v23, v49, v23
	v_fma_f16 v49, v134, s22, -v108
	v_mul_f16_sdwa v121, v35, s28 dst_sel:DWORD dst_unused:UNUSED_PAD src0_sel:WORD_1 src1_sel:DWORD
	v_add_f16_e32 v46, v49, v46
	v_fma_f16 v49, v37, s9, v121
	v_mul_f16_e32 v124, 0x3bf7, v35
	v_add_f16_e32 v47, v49, v47
	v_fma_f16 v49, v134, s9, -v124
	v_mul_f16_sdwa v80, v39, s21 dst_sel:DWORD dst_unused:UNUSED_PAD src0_sel:WORD_1 src1_sel:DWORD
	v_add_f16_e32 v48, v49, v48
	v_fma_f16 v49, v41, s22, v80
	v_lshrrev_b32_e32 v135, 16, v41
	v_mul_f16_e32 v88, 0x3b29, v39
	v_add_f16_e32 v20, v49, v20
	v_fma_f16 v49, v135, s8, -v88
	v_mul_f16_e32 v100, 0xbbf7, v39
	v_add_f16_e32 v49, v49, v21
	v_fma_f16 v21, v135, s9, -v100
	;; [unrolled: 3-line block ×3, first 2 shown]
	v_mul_f16_sdwa v123, v39, s29 dst_sel:DWORD dst_unused:UNUSED_PAD src0_sel:WORD_1 src1_sel:DWORD
	v_add_f16_e32 v46, v21, v46
	v_fma_f16 v21, v41, s17, v123
	v_mul_f16_e32 v127, 0xb5c8, v39
	v_add_f16_e32 v137, v21, v47
	v_fma_f16 v21, v135, s17, -v127
	v_lshrrev_b32_e32 v136, 16, v55
	v_mul_f16_e32 v125, 0xb836, v52
	v_add_f16_e32 v50, v21, v48
	s_mov_b32 s4, 0x3b7639e9
	v_mul_f16_e32 v111, 0x35c8, v52
	v_fma_f16 v48, v136, s22, -v125
	v_mul_f16_e32 v128, 0x3964, v52
	s_mov_b32 s5, 0xb964b5c8
	s_mov_b32 s35, 0xbbf7b964
	v_pk_mul_f16 v51, v24, s4
	v_fma_f16 v47, v136, s17, -v111
	v_add_f16_e32 v48, v48, v23
	v_fma_f16 v23, v136, s19, -v128
	v_mul_f16_e32 v131, 0xba62, v52
	s_mov_b32 s30, 0x2de839e9
	s_mov_b32 s36, 0x3722b8d2
	v_mul_f16_sdwa v90, v52, s14 dst_sel:DWORD dst_unused:UNUSED_PAD src0_sel:WORD_1 src1_sel:DWORD
	v_pk_mul_f16 v113, v26, s35
	v_add_f16_e32 v47, v47, v49
	v_add_f16_e32 v49, v23, v46
	v_fma_f16 v23, v136, s15, -v131
	v_pk_fma_f16 v112, v14, s5, v51 op_sel:[0,0,1] op_sel_hi:[1,1,0] neg_lo:[1,0,0] neg_hi:[1,0,0]
	s_mov_b32 s37, 0xba62bb29
	s_mov_b32 s38, 0x2de8bbdd
	v_fma_f16 v21, v55, s16, v90
	v_pk_fma_f16 v96, v14, s5, v51 op_sel:[0,0,1] op_sel_hi:[1,1,0]
	v_pk_fma_f16 v97, v25, s30, v113
	v_pk_mul_f16 v114, v28, s36
	v_add_f16_e32 v50, v23, v50
	v_pk_fma_f16 v113, v25, s30, v113 neg_lo:[0,0,1] neg_hi:[0,0,1]
	v_add_f16_sdwa v23, v112, v0 dst_sel:DWORD dst_unused:UNUSED_PAD src0_sel:DWORD src1_sel:WORD_1
	s_mov_b32 s39, 0xb1e1bbf7
	s_mov_b32 s40, 0xb461bacd
	v_add_f16_e32 v21, v21, v20
	v_add_f16_sdwa v20, v96, v0 dst_sel:DWORD dst_unused:UNUSED_PAD src0_sel:WORD_1 src1_sel:DWORD
	v_pk_fma_f16 v98, v27, s37, v114 op_sel:[0,0,1] op_sel_hi:[1,1,0]
	v_pk_mul_f16 v115, v30, s38
	v_pk_fma_f16 v114, v27, s37, v114 op_sel:[0,0,1] op_sel_hi:[1,1,0] neg_lo:[1,0,0] neg_hi:[1,0,0]
	v_add_f16_e32 v23, v113, v23
	s_mov_b32 s41, 0x3836bbb2
	s_mov_b32 s42, 0xb8d2b461
	v_add_f16_sdwa v20, v97, v20 dst_sel:DWORD dst_unused:UNUSED_PAD src0_sel:WORD_1 src1_sel:DWORD
	v_pk_fma_f16 v101, v29, s39, v115 op_sel:[0,0,1] op_sel_hi:[1,1,0]
	v_pk_mul_f16 v116, v33, s40
	v_pk_fma_f16 v115, v29, s39, v115 op_sel:[0,0,1] op_sel_hi:[1,1,0] neg_lo:[1,0,0] neg_hi:[1,0,0]
	v_add_f16_e32 v23, v114, v23
	s_mov_b32 s43, 0x3bb2ba62
	s_mov_b32 s44, 0xbacd3722
	;; [unrolled: 7-line block ×3, first 2 shown]
	v_add_f16_sdwa v20, v101, v20 dst_sel:DWORD dst_unused:UNUSED_PAD src0_sel:WORD_1 src1_sel:DWORD
	v_pk_fma_f16 v105, v35, s43, v117 op_sel:[0,0,1] op_sel_hi:[1,1,0]
	v_pk_mul_f16 v118, v41, s44
	v_pk_fma_f16 v117, v35, s43, v117 op_sel:[0,0,1] op_sel_hi:[1,1,0] neg_lo:[1,0,0] neg_hi:[1,0,0]
	v_add_f16_e32 v23, v116, v23
	s_mov_b32 s47, 0x35c8b1e1
	v_add_f16_sdwa v20, v103, v20 dst_sel:DWORD dst_unused:UNUSED_PAD src0_sel:WORD_1 src1_sel:DWORD
	v_pk_fma_f16 v106, v39, s45, v118 op_sel:[0,0,1] op_sel_hi:[1,1,0]
	v_pk_mul_f16 v120, v55, s46
	v_pk_fma_f16 v118, v39, s45, v118 op_sel:[0,0,1] op_sel_hi:[1,1,0] neg_lo:[1,0,0] neg_hi:[1,0,0]
	v_add_f16_e32 v23, v117, v23
	v_add_f16_sdwa v20, v105, v20 dst_sel:DWORD dst_unused:UNUSED_PAD src0_sel:WORD_1 src1_sel:DWORD
	v_pk_fma_f16 v107, v52, s47, v120 op_sel:[0,0,1] op_sel_hi:[1,1,0]
	v_pk_fma_f16 v120, v52, s47, v120 op_sel:[0,0,1] op_sel_hi:[1,1,0] neg_lo:[1,0,0] neg_hi:[1,0,0]
	v_add_f16_e32 v23, v118, v23
	v_mul_f16_sdwa v133, v52, s11 dst_sel:DWORD dst_unused:UNUSED_PAD src0_sel:WORD_1 src1_sel:DWORD
	v_add_f16_sdwa v20, v106, v20 dst_sel:DWORD dst_unused:UNUSED_PAD src0_sel:WORD_1 src1_sel:DWORD
	v_add_f16_e32 v51, v120, v23
	v_fma_f16 v23, v55, s15, v133
	v_add_f16_sdwa v20, v107, v20 dst_sel:DWORD dst_unused:UNUSED_PAD src0_sel:WORD_1 src1_sel:DWORD
	s_movk_i32 s30, 0x3b29
	v_add_f16_e32 v23, v23, v137
	v_mul_lo_u16_e32 v46, 17, v42
	s_barrier
	s_and_saveexec_b64 s[4:5], vcc
	s_cbranch_execz .LBB0_7
; %bb.6:
	v_mul_f16_e32 v202, 0xb8d2, v126
	v_fma_f16 v203, v14, s31, v202
	v_mul_f16_e32 v204, 0xb461, v25
	v_add_f16_sdwa v203, v203, v0 dst_sel:DWORD dst_unused:UNUSED_PAD src0_sel:DWORD src1_sel:WORD_1
	v_fma_f16 v205, v26, s24, v204
	v_add_f16_e32 v203, v205, v203
	v_mul_f16_e32 v205, 0x3b76, v129
	v_fma_f16 v206, v27, s20, v205
	v_add_f16_e32 v203, v206, v203
	v_mul_f16_e32 v206, 0xbacd, v130
	;; [unrolled: 3-line block ×6, first 2 shown]
	v_fma_f16 v211, v52, s25, v210
	v_add_f16_e32 v203, v211, v203
	v_mul_f16_sdwa v211, v14, s11 dst_sel:DWORD dst_unused:UNUSED_PAD src0_sel:WORD_1 src1_sel:DWORD
	v_fma_f16 v212, v24, s15, v211
	v_mul_f16_sdwa v213, v26, s26 dst_sel:DWORD dst_unused:UNUSED_PAD src0_sel:WORD_1 src1_sel:DWORD
	v_add_f16_e32 v212, v212, v0
	v_fma_f16 v214, v54, s10, v213
	v_add_f16_e32 v212, v214, v212
	v_mul_f16_sdwa v214, v27, s29 dst_sel:DWORD dst_unused:UNUSED_PAD src0_sel:WORD_1 src1_sel:DWORD
	v_fma_f16 v215, v28, s17, v214
	v_add_f16_e32 v212, v215, v212
	v_mul_f16_sdwa v215, v29, s21 dst_sel:DWORD dst_unused:UNUSED_PAD src0_sel:WORD_1 src1_sel:DWORD
	;; [unrolled: 3-line block ×6, first 2 shown]
	v_mul_f16_e32 v139, 0x39e9, v126
	v_mul_f16_e32 v141, 0x3722, v126
	;; [unrolled: 1-line block ×4, first 2 shown]
	v_fma_f16 v220, v55, s8, v219
	v_mul_f16_e32 v126, 0xbacd, v126
	v_add_f16_e32 v212, v220, v212
	v_fma_f16 v220, v14, s34, v126
	v_mul_f16_e32 v221, 0x3722, v25
	v_mul_f16_e32 v155, 0xb8d2, v129
	;; [unrolled: 1-line block ×5, first 2 shown]
	v_add_f16_sdwa v220, v220, v0 dst_sel:DWORD dst_unused:UNUSED_PAD src0_sel:DWORD src1_sel:WORD_1
	v_fma_f16 v222, v26, s25, v221
	v_mul_f16_e32 v129, 0x2de8, v129
	v_mul_f16_e32 v163, 0xbbdd, v130
	v_mul_f16_e32 v165, 0xb461, v130
	v_mul_f16_e32 v167, 0x3b76, v130
	v_mul_f16_e32 v169, 0x3722, v130
	v_add_f16_e32 v220, v222, v220
	v_fma_f16 v222, v27, s28, v129
	v_mul_f16_e32 v130, 0xb8d2, v130
	v_mul_f16_e32 v171, 0xbacd, v132
	v_mul_f16_e32 v173, 0x39e9, v132
	v_mul_f16_e32 v175, 0x3722, v132
	v_mul_f16_e32 v177, 0xbbdd, v132
	v_add_f16_e32 v220, v222, v220
	;; [unrolled: 7-line block ×5, first 2 shown]
	v_fma_f16 v222, v39, s33, v135
	v_mul_f16_e32 v136, 0xb461, v136
	v_add_f16_e32 v220, v222, v220
	v_fma_f16 v222, v52, s26, v136
	v_fma_f16 v126, v14, s21, v126
	v_add_f16_e32 v220, v222, v220
	v_mul_f16_sdwa v222, v14, s21 dst_sel:DWORD dst_unused:UNUSED_PAD src0_sel:WORD_1 src1_sel:DWORD
	v_add_f16_sdwa v126, v126, v0 dst_sel:DWORD dst_unused:UNUSED_PAD src0_sel:DWORD src1_sel:WORD_1
	v_fma_f16 v221, v26, s30, v221
	v_fma_f16 v223, v24, s22, v222
	v_mul_f16_sdwa v224, v26, s30 dst_sel:DWORD dst_unused:UNUSED_PAD src0_sel:WORD_1 src1_sel:DWORD
	v_add_f16_e32 v126, v221, v126
	v_fma_f16 v129, v27, s23, v129
	v_add_f16_e32 v223, v223, v0
	v_fma_f16 v225, v54, s8, v224
	;; [unrolled: 2-line block ×3, first 2 shown]
	v_add_f16_e32 v223, v225, v223
	v_mul_f16_sdwa v225, v27, s23 dst_sel:DWORD dst_unused:UNUSED_PAD src0_sel:WORD_1 src1_sel:DWORD
	v_add_f16_e32 v126, v129, v126
	v_fma_f16 v129, v32, s29, v132
	v_fma_f16 v226, v28, s9, v225
	v_add_f16_e32 v126, v129, v126
	v_fma_f16 v129, v35, s14, v134
	v_add_f16_e32 v223, v226, v223
	v_mul_f16_sdwa v226, v29, s31 dst_sel:DWORD dst_unused:UNUSED_PAD src0_sel:WORD_1 src1_sel:DWORD
	v_add_f16_e32 v126, v129, v126
	v_fma_f16 v129, v39, s18, v135
	v_mul_f16_e32 v140, 0x3722, v24
	v_fma_f16 v227, v30, s15, v226
	v_add_f16_e32 v126, v129, v126
	v_fma_f16 v129, v52, s24, v136
	v_mul_f16_e32 v148, 0xb8d2, v54
	v_add_f16_e32 v223, v227, v223
	v_mul_f16_sdwa v227, v32, s29 dst_sel:DWORD dst_unused:UNUSED_PAD src0_sel:WORD_1 src1_sel:DWORD
	v_add_f16_e32 v126, v129, v126
	v_fma_f16 v129, v24, s22, -v222
	v_sub_f16_e32 v31, v140, v31
	v_mul_f16_e32 v142, 0x2de8, v24
	v_mul_f16_e32 v156, 0xbbdd, v28
	v_fma_f16 v228, v33, s17, v227
	v_add_f16_e32 v129, v129, v0
	v_fma_f16 v130, v54, s8, -v224
	v_add_f16_e32 v31, v31, v0
	v_sub_f16_e32 v34, v148, v34
	v_mul_f16_e32 v150, 0xbbdd, v54
	v_mul_f16_e32 v164, 0xb461, v30
	v_add_f16_e32 v223, v228, v223
	v_mul_f16_sdwa v228, v35, s14 dst_sel:DWORD dst_unused:UNUSED_PAD src0_sel:WORD_1 src1_sel:DWORD
	v_add_f16_e32 v129, v130, v129
	v_fma_f16 v130, v28, s9, -v225
	v_sub_f16_e32 v36, v142, v36
	v_add_f16_e32 v31, v34, v31
	v_sub_f16_e32 v34, v156, v38
	v_mul_f16_e32 v158, 0xb461, v28
	v_mul_f16_e32 v172, 0x39e9, v33
	v_fma_f16 v229, v37, s16, v228
	v_add_f16_e32 v129, v130, v129
	v_fma_f16 v130, v30, s15, -v226
	v_add_f16_e32 v36, v36, v0
	v_sub_f16_e32 v40, v150, v40
	v_add_f16_e32 v31, v34, v31
	v_sub_f16_e32 v34, v164, v44
	v_mul_f16_e32 v166, 0x3b76, v30
	v_mul_f16_e32 v180, 0x3b76, v37
	v_add_f16_e32 v223, v229, v223
	v_mul_f16_sdwa v229, v39, s18 dst_sel:DWORD dst_unused:UNUSED_PAD src0_sel:WORD_1 src1_sel:DWORD
	v_add_f16_e32 v129, v130, v129
	v_fma_f16 v130, v33, s17, -v227
	v_add_f16_e32 v36, v40, v36
	v_sub_f16_e32 v40, v158, v53
	v_add_f16_e32 v31, v34, v31
	v_sub_f16_e32 v34, v172, v56
	v_mul_f16_e32 v174, 0x3722, v33
	v_mul_f16_e32 v188, 0x2de8, v41
	v_fma_f16 v230, v41, s19, v229
	v_add_f16_e32 v129, v130, v129
	v_fma_f16 v130, v37, s16, -v228
	v_add_f16_e32 v36, v40, v36
	v_sub_f16_e32 v40, v166, v57
	v_add_f16_e32 v31, v34, v31
	v_sub_f16_e32 v34, v180, v58
	v_mul_f16_e32 v182, 0xbacd, v37
	v_mul_f16_e32 v196, 0xbacd, v55
	v_add_f16_e32 v223, v230, v223
	v_mul_f16_sdwa v230, v52, s24 dst_sel:DWORD dst_unused:UNUSED_PAD src0_sel:WORD_1 src1_sel:DWORD
	v_add_f16_e32 v129, v130, v129
	v_fma_f16 v130, v41, s19, -v229
	v_add_f16_e32 v36, v40, v36
	v_sub_f16_e32 v40, v174, v59
	v_add_f16_e32 v31, v34, v31
	v_sub_f16_e32 v34, v188, v60
	v_mul_f16_e32 v190, 0xb8d2, v41
	v_add_f16_e32 v129, v130, v129
	v_fma_f16 v130, v55, s10, -v230
	v_add_f16_e32 v36, v40, v36
	v_sub_f16_e32 v40, v182, v61
	v_add_f16_e32 v31, v34, v31
	v_sub_f16_e32 v34, v196, v66
	v_mul_f16_e32 v147, 0x2de8, v25
	v_mul_f16_e32 v198, 0x39e9, v55
	v_add_f16_e32 v129, v130, v129
	v_fma_f16 v130, v14, s11, v202
	v_add_f16_e32 v36, v40, v36
	v_sub_f16_e32 v40, v190, v65
	v_add_f16_e32 v31, v34, v31
	v_add_f16_e32 v34, v67, v139
	v_add_f16_sdwa v130, v130, v0 dst_sel:DWORD dst_unused:UNUSED_PAD src0_sel:DWORD src1_sel:WORD_1
	v_fma_f16 v132, v26, s26, v204
	v_add_f16_e32 v36, v40, v36
	v_sub_f16_e32 v40, v198, v71
	v_add_f16_sdwa v34, v34, v0 dst_sel:DWORD dst_unused:UNUSED_PAD src0_sel:DWORD src1_sel:WORD_1
	v_add_f16_e32 v38, v68, v147
	v_mul_f16_e32 v149, 0xb8d2, v25
	v_add_f16_e32 v130, v132, v130
	v_fma_f16 v132, v27, s29, v205
	v_add_f16_e32 v36, v40, v36
	v_add_f16_e32 v40, v74, v141
	;; [unrolled: 1-line block ×4, first 2 shown]
	v_alignbit_b32 v137, v0, v0, 16
	v_add_f16_e32 v130, v132, v130
	v_fma_f16 v132, v29, s21, v206
	v_add_f16_sdwa v40, v40, v0 dst_sel:DWORD dst_unused:UNUSED_PAD src0_sel:DWORD src1_sel:WORD_1
	v_add_f16_e32 v53, v75, v149
	v_add_f16_e32 v34, v38, v34
	;; [unrolled: 1-line block ×3, first 2 shown]
	v_alignbit_b32 v63, v63, v63, 16
	v_add_f16_e32 v130, v132, v130
	v_fma_f16 v132, v32, s28, v207
	v_add_f16_e32 v40, v53, v40
	v_add_f16_e32 v53, v79, v157
	;; [unrolled: 1-line block ×4, first 2 shown]
	v_pk_add_f16 v1, v1, v137 op_sel:[0,1] op_sel_hi:[1,0]
	v_add_f16_e32 v130, v132, v130
	v_fma_f16 v132, v35, s33, v208
	v_add_f16_e32 v40, v53, v40
	v_add_f16_e32 v53, v84, v165
	;; [unrolled: 1-line block ×4, first 2 shown]
	v_pk_add_f16 v1, v63, v1
	v_add_f16_e32 v130, v132, v130
	v_fma_f16 v132, v39, s14, v209
	v_add_f16_e32 v40, v53, v40
	v_add_f16_e32 v53, v87, v173
	;; [unrolled: 1-line block ×4, first 2 shown]
	v_pk_add_f16 v1, v15, v1
	v_mul_f16_e32 v138, 0x3b76, v24
	v_mul_f16_e32 v144, 0xb461, v24
	v_add_f16_e32 v130, v132, v130
	v_fma_f16 v132, v52, s30, v210
	v_add_f16_e32 v40, v53, v40
	v_add_f16_e32 v53, v91, v181
	;; [unrolled: 1-line block ×4, first 2 shown]
	s_mov_b32 s23, 0xffff
	v_pk_add_f16 v1, v12, v1
	v_mul_f16_e32 v146, 0x39e9, v54
	v_add_f16_e32 v130, v132, v130
	v_fma_f16 v132, v24, s15, -v211
	v_add_f16_e32 v94, v94, v145
	v_sub_f16_e32 v85, v144, v85
	v_add_f16_e32 v81, v81, v143
	v_add_f16_e32 v40, v53, v40
	;; [unrolled: 1-line block ×4, first 2 shown]
	v_bfi_b32 v38, s23, v96, v112
	v_sub_f16_e32 v61, v138, v62
	v_pk_add_f16 v1, v13, v1
	v_mul_f16_e32 v151, 0xbbdd, v25
	v_mul_f16_e32 v154, 0x3722, v28
	v_add_f16_e32 v132, v132, v0
	v_add_f16_sdwa v94, v94, v0 dst_sel:DWORD dst_unused:UNUSED_PAD src0_sel:DWORD src1_sel:WORD_1
	v_add_f16_e32 v85, v85, v0
	v_add_f16_sdwa v81, v81, v0 dst_sel:DWORD dst_unused:UNUSED_PAD src0_sel:DWORD src1_sel:WORD_1
	v_add_f16_e32 v40, v53, v40
	v_add_f16_e32 v53, v125, v197
	v_bfi_b32 v44, s23, v97, v113
	v_add_f16_e32 v0, v61, v0
	v_sub_f16_e32 v61, v146, v64
	v_pk_add_f16 v1, v2, v1
	v_pk_add_f16 v2, v38, v137
	v_mul_f16_e32 v152, 0xbacd, v54
	v_mul_f16_e32 v153, 0xbacd, v25
	;; [unrolled: 1-line block ×3, first 2 shown]
	v_add_f16_e32 v82, v82, v151
	v_add_f16_e32 v40, v53, v40
	v_bfi_b32 v53, s23, v98, v114
	v_add_f16_e32 v0, v61, v0
	v_sub_f16_e32 v61, v154, v69
	v_pk_add_f16 v2, v44, v2
	v_mul_f16_e32 v160, 0x39e9, v28
	v_mul_f16_e32 v170, 0xb461, v33
	v_fma_f16 v54, v54, s10, -v213
	v_add_f16_e32 v95, v95, v153
	v_sub_f16_e32 v86, v152, v86
	v_add_f16_e32 v81, v82, v81
	v_add_f16_e32 v82, v89, v159
	v_bfi_b32 v56, s23, v101, v115
	v_add_f16_e32 v0, v61, v0
	v_sub_f16_e32 v61, v162, v70
	v_pk_add_f16 v1, v3, v1
	v_pk_add_f16 v2, v53, v2
	v_mul_f16_e32 v168, 0x3722, v30
	v_mul_f16_e32 v178, 0xb8d2, v37
	v_add_f16_e32 v54, v54, v132
	v_fma_f16 v132, v28, s17, -v214
	v_add_f16_e32 v94, v95, v94
	v_add_f16_e32 v95, v104, v161
	v_add_f16_e32 v85, v86, v85
	v_sub_f16_e32 v86, v160, v93
	v_add_f16_e32 v81, v82, v81
	v_add_f16_e32 v82, v92, v167
	v_bfi_b32 v57, s23, v103, v116
	v_add_f16_e32 v0, v61, v0
	v_sub_f16_e32 v61, v170, v73
	v_pk_add_f16 v1, v4, v1
	v_pk_add_f16 v2, v56, v2
	v_mul_f16_e32 v176, 0xbbdd, v33
	v_mul_f16_e32 v186, 0xbacd, v41
	v_add_f16_e32 v54, v132, v54
	v_fma_f16 v132, v30, s22, -v215
	v_add_f16_e32 v94, v95, v94
	v_add_f16_e32 v95, v110, v169
	;; [unrolled: 15-line block ×3, first 2 shown]
	v_add_f16_e32 v85, v86, v85
	v_sub_f16_e32 v86, v176, v109
	v_add_f16_e32 v81, v82, v81
	v_add_f16_e32 v82, v108, v183
	v_bfi_b32 v59, s23, v106, v118
	v_add_f16_e32 v0, v61, v0
	v_sub_f16_e32 v61, v186, v80
	v_pk_add_f16 v1, v6, v1
	v_pk_add_f16 v2, v58, v2
	v_mul_f16_e32 v192, 0x3b76, v41
	v_add_f16_e32 v54, v132, v54
	v_fma_f16 v132, v37, s19, -v217
	v_add_f16_e32 v94, v95, v94
	v_add_f16_e32 v95, v124, v185
	;; [unrolled: 1-line block ×3, first 2 shown]
	v_sub_f16_e32 v86, v184, v121
	v_add_f16_e32 v81, v82, v81
	v_add_f16_e32 v82, v119, v191
	v_bfi_b32 v60, s23, v107, v120
	v_add_f16_e32 v0, v61, v0
	v_sub_f16_e32 v61, v194, v90
	v_pk_add_f16 v1, v7, v1
	v_pk_add_f16 v2, v59, v2
	v_mul_f16_e32 v200, 0xb8d2, v55
	v_add_f16_e32 v54, v132, v54
	v_fma_f16 v132, v41, s16, -v218
	v_add_f16_e32 v94, v95, v94
	v_add_f16_e32 v95, v127, v193
	;; [unrolled: 1-line block ×3, first 2 shown]
	v_sub_f16_e32 v86, v192, v123
	v_add_f16_e32 v81, v82, v81
	v_add_f16_e32 v82, v128, v199
	;; [unrolled: 1-line block ×3, first 2 shown]
	v_pk_add_f16 v1, v8, v1
	v_pk_add_f16 v2, v60, v2
	v_add_f16_e32 v54, v132, v54
	v_fma_f16 v132, v55, s8, -v219
	v_add_f16_e32 v94, v95, v94
	v_add_f16_e32 v95, v131, v201
	;; [unrolled: 1-line block ×3, first 2 shown]
	v_sub_f16_e32 v86, v200, v133
	v_add_f16_e32 v81, v82, v81
	v_add_lshl_u32 v12, v22, v46, 2
	v_pk_add_f16 v1, v9, v1
	v_alignbit_b32 v3, v34, v2, 16
	v_pack_b32_f16 v0, v0, v2
	v_add_f16_e32 v54, v132, v54
	v_add_f16_e32 v94, v95, v94
	;; [unrolled: 1-line block ×3, first 2 shown]
	v_pk_add_f16 v1, v10, v1
	ds_write2_b32 v12, v0, v3 offset0:1 offset1:2
	v_pack_b32_f16 v0, v36, v81
	v_pack_b32_f16 v2, v31, v40
	v_pk_add_f16 v1, v11, v1
	ds_write2_b32 v12, v2, v0 offset0:3 offset1:4
	v_pack_b32_f16 v0, v85, v94
	v_pack_b32_f16 v2, v54, v130
	v_pk_add_f16 v1, v16, v1
	ds_write2_b32 v12, v0, v2 offset0:5 offset1:6
	v_pack_b32_f16 v0, v129, v126
	ds_write2_b32 v12, v1, v0 offset1:7
	v_pk_mul_f16 v0, v24, s16 op_sel_hi:[1,0]
	v_pk_fma_f16 v1, v14, s14, v0 op_sel:[0,0,1] op_sel_hi:[1,0,0] neg_lo:[1,0,0] neg_hi:[1,0,0]
	v_pk_mul_f16 v2, v26, s20 op_sel_hi:[1,0]
	v_pk_add_f16 v1, v1, v137
	v_pk_fma_f16 v3, v25, s17, v2 op_sel_hi:[1,0,1] neg_lo:[0,0,1] neg_hi:[0,0,1]
	v_pk_add_f16 v1, v3, v1
	v_pk_mul_f16 v3, v28, s22 op_sel_hi:[1,0]
	v_pk_fma_f16 v4, v27, s21, v3 op_sel:[0,0,1] op_sel_hi:[1,0,0] neg_lo:[1,0,0] neg_hi:[1,0,0]
	v_pk_add_f16 v1, v4, v1
	v_pk_mul_f16 v4, v30, s19 op_sel_hi:[1,0]
	v_pk_fma_f16 v5, v29, s18, v4 op_sel:[0,0,1] op_sel_hi:[1,0,0] neg_lo:[1,0,0] neg_hi:[1,0,0]
	v_pk_add_f16 v1, v5, v1
	v_pk_mul_f16 v5, v33, s15 op_sel_hi:[1,0]
	v_pk_fma_f16 v0, v14, s14, v0 op_sel:[0,0,1] op_sel_hi:[1,0,0]
	v_pk_fma_f16 v6, v32, s11, v5 op_sel:[0,0,1] op_sel_hi:[1,0,0] neg_lo:[1,0,0] neg_hi:[1,0,0]
	v_pk_add_f16 v0, v0, v137
	v_pk_fma_f16 v2, v25, s17, v2 op_sel_hi:[1,0,1]
	v_pk_add_f16 v1, v6, v1
	v_pk_mul_f16 v6, v37, s8 op_sel_hi:[1,0]
	v_pk_add_f16 v0, v2, v0
	v_pk_fma_f16 v2, v27, s21, v3 op_sel:[0,0,1] op_sel_hi:[1,0,0]
	v_pk_fma_f16 v7, v35, s30, v6 op_sel:[0,0,1] op_sel_hi:[1,0,0] neg_lo:[1,0,0] neg_hi:[1,0,0]
	v_pk_add_f16 v0, v2, v0
	v_pk_fma_f16 v2, v29, s18, v4 op_sel:[0,0,1] op_sel_hi:[1,0,0]
	v_pk_add_f16 v1, v7, v1
	v_pk_mul_f16 v7, v41, s10 op_sel_hi:[1,0]
	v_pk_add_f16 v0, v2, v0
	v_pk_fma_f16 v2, v32, s11, v5 op_sel:[0,0,1] op_sel_hi:[1,0,0]
	v_pk_fma_f16 v8, v39, s24, v7 op_sel:[0,0,1] op_sel_hi:[1,0,0] neg_lo:[1,0,0] neg_hi:[1,0,0]
	v_pk_add_f16 v0, v2, v0
	v_pk_fma_f16 v2, v35, s30, v6 op_sel:[0,0,1] op_sel_hi:[1,0,0]
	;; [unrolled: 7-line block ×3, first 2 shown]
	v_fma_f16 v231, v55, s10, v230
	v_pk_add_f16 v1, v9, v1
	v_pk_add_f16 v0, v2, v0
	v_add_f16_e32 v223, v231, v223
	v_alignbit_b32 v2, v1, v0, 16
	v_alignbit_b32 v0, v0, v1, 16
	ds_write2_b32 v12, v0, v2 offset0:8 offset1:9
	v_pack_b32_f16 v0, v212, v203
	v_pack_b32_f16 v1, v223, v220
	s_mov_b32 s8, 0x5040100
	ds_write2_b32 v12, v1, v0 offset0:10 offset1:11
	v_perm_b32 v0, v49, v18, s8
	v_perm_b32 v1, v50, v23, s8
	ds_write2_b32 v12, v1, v0 offset0:12 offset1:13
	v_perm_b32 v0, v47, v20, s8
	v_perm_b32 v1, v48, v19, s8
	ds_write2_b32 v12, v1, v0 offset0:14 offset1:15
	v_perm_b32 v0, v51, v21, s8
	ds_write_b32 v12, v0 offset:64
.LBB0_7:
	s_or_b64 exec, exec, s[4:5]
	s_movk_i32 s14, 0xcc
	s_load_dwordx4 s[8:11], s[0:1], 0x0
	v_add_co_u32_e64 v14, s[0:1], s14, v42
	s_movk_i32 s1, 0xf1
	v_add_u16_e32 v15, 0x66, v42
	v_mul_lo_u16_sdwa v0, v42, s1 dst_sel:DWORD dst_unused:UNUSED_PAD src0_sel:BYTE_0 src1_sel:DWORD
	v_mul_lo_u16_sdwa v2, v15, s1 dst_sel:DWORD dst_unused:UNUSED_PAD src0_sel:BYTE_0 src1_sel:DWORD
	v_lshrrev_b16_e32 v12, 12, v0
	v_lshrrev_b16_e32 v16, 12, v2
	v_mul_lo_u16_e32 v0, 17, v12
	v_mul_lo_u16_e32 v2, 17, v16
	v_sub_u16_e32 v13, v42, v0
	v_mov_b32_e32 v0, 3
	v_sub_u16_e32 v32, v15, v2
	s_movk_i32 s0, 0x132
	v_lshlrev_b32_sdwa v1, v0, v13 dst_sel:DWORD dst_unused:UNUSED_PAD src0_sel:DWORD src1_sel:BYTE_0
	v_lshlrev_b32_sdwa v0, v0, v32 dst_sel:DWORD dst_unused:UNUSED_PAD src0_sel:DWORD src1_sel:BYTE_0
	s_waitcnt lgkmcnt(0)
	s_barrier
	global_load_dwordx2 v[26:27], v1, s[2:3]
	global_load_dwordx2 v[24:25], v0, s[2:3]
	v_add_co_u32_e64 v0, s[0:1], s0, v42
	s_mov_b32 s0, 0xf0f1
	v_mul_u32_u24_sdwa v1, v14, s0 dst_sel:DWORD dst_unused:UNUSED_PAD src0_sel:WORD_0 src1_sel:DWORD
	v_mul_u32_u24_sdwa v2, v0, s0 dst_sel:DWORD dst_unused:UNUSED_PAD src0_sel:WORD_0 src1_sel:DWORD
	v_lshrrev_b32_e32 v33, 20, v1
	v_lshrrev_b32_e32 v35, 20, v2
	v_mul_lo_u16_e32 v1, 17, v33
	v_mul_lo_u16_e32 v2, 17, v35
	v_sub_u16_e32 v34, v14, v1
	v_sub_u16_e32 v36, v0, v2
	v_lshlrev_b16_e32 v1, 1, v34
	v_lshlrev_b16_e32 v0, 1, v36
	v_lshlrev_b32_e32 v1, 2, v1
	v_lshlrev_b32_e32 v0, 2, v0
	global_load_dwordx2 v[30:31], v1, s[2:3]
	global_load_dwordx2 v[28:29], v0, s[2:3]
	v_add_lshl_u32 v52, v22, v42, 2
	v_add_u32_e32 v38, 0x400, v52
	ds_read2_b32 v[0:1], v52 offset1:102
	v_add_u32_e32 v40, 0xc00, v52
	v_add_u32_e32 v39, 0x200, v52
	;; [unrolled: 1-line block ×4, first 2 shown]
	ds_read2_b32 v[2:3], v38 offset0:152 offset1:254
	ds_read2_b32 v[4:5], v40 offset0:48 offset1:150
	;; [unrolled: 1-line block ×5, first 2 shown]
	s_waitcnt lgkmcnt(4)
	v_lshrrev_b32_e32 v54, 16, v2
	v_lshrrev_b32_e32 v56, 16, v3
	s_waitcnt lgkmcnt(3)
	v_lshrrev_b32_e32 v55, 16, v4
	s_waitcnt lgkmcnt(1)
	v_lshrrev_b32_e32 v59, 16, v8
	v_lshrrev_b32_e32 v62, 16, v9
	s_waitcnt lgkmcnt(0)
	v_lshrrev_b32_e32 v63, 16, v11
	v_lshrrev_b32_e32 v57, 16, v5
	;; [unrolled: 1-line block ×4, first 2 shown]
	s_movk_i32 s5, 0x3aee
	s_mov_b32 s4, 0xbaee
	v_lshrrev_b32_e32 v53, 16, v1
	v_lshrrev_b32_e32 v58, 16, v6
	;; [unrolled: 1-line block ×3, first 2 shown]
	s_waitcnt vmcnt(0)
	s_barrier
	v_cmp_gt_u16_e64 s[0:1], 51, v42
	v_mul_f16_sdwa v64, v54, v26 dst_sel:DWORD dst_unused:UNUSED_PAD src0_sel:DWORD src1_sel:WORD_1
	v_mul_f16_sdwa v68, v56, v24 dst_sel:DWORD dst_unused:UNUSED_PAD src0_sel:DWORD src1_sel:WORD_1
	;; [unrolled: 1-line block ×4, first 2 shown]
	v_fma_f16 v2, v2, v26, -v64
	v_fma_f16 v3, v3, v24, -v68
	v_mul_f16_sdwa v66, v55, v27 dst_sel:DWORD dst_unused:UNUSED_PAD src0_sel:DWORD src1_sel:WORD_1
	v_fma_f16 v54, v54, v26, v65
	v_mul_f16_sdwa v67, v4, v27 dst_sel:DWORD dst_unused:UNUSED_PAD src0_sel:DWORD src1_sel:WORD_1
	v_fma_f16 v4, v4, v27, -v66
	v_fma_f16 v55, v55, v27, v67
	v_mul_f16_sdwa v70, v57, v25 dst_sel:DWORD dst_unused:UNUSED_PAD src0_sel:DWORD src1_sel:WORD_1
	v_mul_f16_sdwa v71, v5, v25 dst_sel:DWORD dst_unused:UNUSED_PAD src0_sel:DWORD src1_sel:WORD_1
	v_fma_f16 v5, v5, v25, -v70
	v_fma_f16 v56, v56, v24, v69
	v_fma_f16 v57, v57, v25, v71
	v_mul_f16_sdwa v64, v59, v30 dst_sel:DWORD dst_unused:UNUSED_PAD src0_sel:DWORD src1_sel:WORD_1
	v_mul_f16_sdwa v68, v62, v28 dst_sel:DWORD dst_unused:UNUSED_PAD src0_sel:DWORD src1_sel:WORD_1
	;; [unrolled: 1-line block ×3, first 2 shown]
	v_fma_f16 v8, v8, v30, -v64
	v_fma_f16 v64, v9, v28, -v68
	v_mul_f16_sdwa v9, v9, v28 dst_sel:DWORD dst_unused:UNUSED_PAD src0_sel:DWORD src1_sel:WORD_1
	v_fma_f16 v9, v62, v28, v9
	v_mul_f16_sdwa v62, v63, v29 dst_sel:DWORD dst_unused:UNUSED_PAD src0_sel:DWORD src1_sel:WORD_1
	v_fma_f16 v59, v59, v30, v65
	v_fma_f16 v62, v11, v29, -v62
	v_mul_f16_sdwa v11, v11, v29 dst_sel:DWORD dst_unused:UNUSED_PAD src0_sel:DWORD src1_sel:WORD_1
	v_add_f16_e32 v65, v2, v4
	v_mul_f16_sdwa v66, v60, v31 dst_sel:DWORD dst_unused:UNUSED_PAD src0_sel:DWORD src1_sel:WORD_1
	v_fma_f16 v11, v63, v29, v11
	v_add_f16_e32 v63, v0, v2
	v_fma_f16 v0, v65, -0.5, v0
	v_sub_f16_e32 v65, v54, v55
	v_mul_f16_sdwa v67, v10, v31 dst_sel:DWORD dst_unused:UNUSED_PAD src0_sel:DWORD src1_sel:WORD_1
	v_fma_f16 v10, v10, v31, -v66
	v_fma_f16 v66, v65, s5, v0
	v_fma_f16 v0, v65, s4, v0
	v_add_f16_e32 v65, v37, v54
	v_add_f16_e32 v54, v54, v55
	v_fma_f16 v37, v54, -0.5, v37
	v_sub_f16_e32 v2, v2, v4
	v_add_f16_e32 v54, v3, v5
	v_add_f16_e32 v63, v63, v4
	v_fma_f16 v4, v2, s4, v37
	v_fma_f16 v2, v2, s5, v37
	v_add_f16_e32 v37, v1, v3
	v_fma_f16 v1, v54, -0.5, v1
	v_sub_f16_e32 v54, v56, v57
	v_add_f16_e32 v65, v65, v55
	v_fma_f16 v55, v54, s5, v1
	v_fma_f16 v1, v54, s4, v1
	v_add_f16_e32 v54, v53, v56
	v_fma_f16 v60, v60, v31, v67
	v_add_f16_e32 v67, v54, v57
	v_add_f16_e32 v54, v56, v57
	v_fma_f16 v53, v54, -0.5, v53
	v_sub_f16_e32 v3, v3, v5
	v_add_f16_e32 v37, v37, v5
	v_fma_f16 v5, v3, s4, v53
	v_fma_f16 v3, v3, s5, v53
	v_add_f16_e32 v53, v6, v8
	v_add_f16_e32 v56, v53, v10
	v_add_f16_e32 v53, v8, v10
	v_fma_f16 v6, v53, -0.5, v6
	v_sub_f16_e32 v53, v59, v60
	v_fma_f16 v57, v53, s5, v6
	v_fma_f16 v6, v53, s4, v6
	v_add_f16_e32 v53, v58, v59
	v_add_f16_e32 v68, v53, v60
	v_add_f16_e32 v53, v59, v60
	v_fma_f16 v53, v53, -0.5, v58
	v_sub_f16_e32 v8, v8, v10
	;; [unrolled: 7-line block ×4, first 2 shown]
	v_fma_f16 v61, v11, s4, v9
	v_fma_f16 v9, v11, s5, v9
	v_mul_u32_u24_e32 v11, 51, v12
	v_add_u32_sdwa v11, v11, v13 dst_sel:DWORD dst_unused:UNUSED_PAD src0_sel:DWORD src1_sel:BYTE_0
	v_add_lshl_u32 v53, v22, v11, 2
	v_pack_b32_f16 v0, v0, v2
	ds_write_b32 v53, v0 offset:136
	v_mul_u32_u24_e32 v0, 51, v16
	v_add_u32_sdwa v0, v0, v32 dst_sel:DWORD dst_unused:UNUSED_PAD src0_sel:DWORD src1_sel:BYTE_0
	v_pack_b32_f16 v11, v63, v65
	v_pack_b32_f16 v4, v66, v4
	v_add_lshl_u32 v54, v22, v0, 2
	v_pack_b32_f16 v0, v37, v67
	v_pack_b32_f16 v2, v55, v5
	ds_write2_b32 v53, v11, v4 offset1:17
	ds_write2_b32 v54, v0, v2 offset1:17
	v_pack_b32_f16 v0, v1, v3
	ds_write_b32 v54, v0 offset:136
	v_mad_legacy_u16 v0, v33, 51, v34
	v_add_lshl_u32 v55, v22, v0, 2
	v_pack_b32_f16 v0, v56, v68
	v_pack_b32_f16 v1, v57, v10
	ds_write2_b32 v55, v0, v1 offset1:17
	v_pack_b32_f16 v0, v6, v8
	ds_write_b32 v55, v0 offset:136
	v_mad_legacy_u16 v0, v35, 51, v36
	v_add_lshl_u32 v56, v22, v0, 2
	v_pack_b32_f16 v0, v58, v60
	v_pack_b32_f16 v1, v59, v61
	ds_write2_b32 v56, v0, v1 offset1:17
	v_pack_b32_f16 v0, v7, v9
	ds_write_b32 v56, v0 offset:136
	v_subrev_u32_e32 v0, 51, v42
	v_cndmask_b32_e64 v36, v0, v42, s[0:1]
	v_mul_i32_i24_e32 v0, 12, v36
	v_mul_hi_i32_i24_e32 v1, 12, v36
	v_mov_b32_e32 v2, s3
	v_add_co_u32_e64 v0, s[0:1], s2, v0
	v_addc_co_u32_e64 v1, s[0:1], v2, v1, s[0:1]
	s_movk_i32 s0, 0xa1
	s_waitcnt lgkmcnt(0)
	s_barrier
	global_load_dwordx3 v[8:10], v[0:1], off offset:136
	v_mul_lo_u16_sdwa v0, v15, s0 dst_sel:DWORD dst_unused:UNUSED_PAD src0_sel:BYTE_0 src1_sel:DWORD
	v_lshrrev_b16_e32 v37, 13, v0
	v_mul_lo_u16_e32 v0, 51, v37
	v_sub_u16_e32 v0, v15, v0
	v_and_b32_e32 v58, 0xff, v0
	v_mad_u64_u32 v[0:1], s[0:1], v58, 12, s[2:3]
	s_mov_b32 s0, 0xa0a1
	global_load_dwordx3 v[11:13], v[0:1], off offset:136
	v_mul_u32_u24_sdwa v0, v14, s0 dst_sel:DWORD dst_unused:UNUSED_PAD src0_sel:WORD_0 src1_sel:DWORD
	v_lshrrev_b32_e32 v59, 21, v0
	v_mul_lo_u16_e32 v0, 51, v59
	v_sub_u16_e32 v60, v14, v0
	v_mul_lo_u16_e32 v0, 12, v60
	v_add_co_u32_e64 v0, s[0:1], s2, v0
	v_addc_co_u32_e64 v1, s[0:1], 0, v2, s[0:1]
	global_load_dwordx3 v[14:16], v[0:1], off offset:136
	ds_read2_b32 v[0:1], v52 offset1:102
	ds_read2_b32 v[2:3], v39 offset0:76 offset1:178
	ds_read2_b32 v[4:5], v41 offset0:100 offset1:202
	;; [unrolled: 1-line block ×5, first 2 shown]
	s_waitcnt lgkmcnt(4)
	v_lshrrev_b32_e32 v61, 16, v3
	s_waitcnt lgkmcnt(3)
	v_lshrrev_b32_e32 v62, 16, v4
	;; [unrolled: 2-line block ×4, first 2 shown]
	v_lshrrev_b32_e32 v66, 16, v5
	s_waitcnt lgkmcnt(0)
	v_lshrrev_b32_e32 v67, 16, v34
	v_lshrrev_b32_e32 v69, 16, v33
	;; [unrolled: 1-line block ×7, first 2 shown]
	v_cmp_lt_u16_e64 s[0:1], 50, v42
	s_waitcnt vmcnt(0)
	s_barrier
	v_mul_f16_sdwa v72, v61, v8 dst_sel:DWORD dst_unused:UNUSED_PAD src0_sel:DWORD src1_sel:WORD_1
	v_fma_f16 v72, v3, v8, -v72
	v_mul_f16_sdwa v3, v3, v8 dst_sel:DWORD dst_unused:UNUSED_PAD src0_sel:DWORD src1_sel:WORD_1
	v_fma_f16 v3, v61, v8, v3
	v_mul_f16_sdwa v61, v62, v9 dst_sel:DWORD dst_unused:UNUSED_PAD src0_sel:DWORD src1_sel:WORD_1
	v_fma_f16 v61, v4, v9, -v61
	v_mul_f16_sdwa v4, v4, v9 dst_sel:DWORD dst_unused:UNUSED_PAD src0_sel:DWORD src1_sel:WORD_1
	v_fma_f16 v4, v62, v9, v4
	;; [unrolled: 4-line block ×7, first 2 shown]
	v_mul_f16_sdwa v69, v70, v15 dst_sel:DWORD dst_unused:UNUSED_PAD src0_sel:DWORD src1_sel:WORD_1
	v_fma_f16 v69, v6, v15, -v69
	v_mul_f16_sdwa v6, v6, v15 dst_sel:DWORD dst_unused:UNUSED_PAD src0_sel:DWORD src1_sel:WORD_1
	v_sub_f16_e32 v4, v57, v4
	v_sub_f16_e32 v7, v3, v7
	v_fma_f16 v6, v70, v15, v6
	v_mul_f16_sdwa v70, v71, v16 dst_sel:DWORD dst_unused:UNUSED_PAD src0_sel:DWORD src1_sel:WORD_1
	v_fma_f16 v57, v57, 2.0, -v4
	v_fma_f16 v3, v3, 2.0, -v7
	v_fma_f16 v70, v35, v16, -v70
	v_mul_f16_sdwa v35, v35, v16 dst_sel:DWORD dst_unused:UNUSED_PAD src0_sel:DWORD src1_sel:WORD_1
	v_sub_f16_e32 v62, v72, v62
	v_sub_f16_e32 v3, v57, v3
	v_fma_f16 v35, v71, v16, v35
	v_fma_f16 v71, v72, 2.0, -v62
	v_fma_f16 v72, v57, 2.0, -v3
	v_sub_f16_e32 v57, v1, v65
	v_sub_f16_e32 v34, v32, v34
	v_fma_f16 v32, v32, 2.0, -v34
	v_sub_f16_e32 v34, v57, v34
	v_fma_f16 v1, v1, 2.0, -v57
	;; [unrolled: 2-line block ×3, first 2 shown]
	v_sub_f16_e32 v57, v2, v69
	v_sub_f16_e32 v35, v33, v35
	v_sub_f16_e32 v61, v0, v61
	v_fma_f16 v33, v33, 2.0, -v35
	v_sub_f16_e32 v35, v57, v35
	v_fma_f16 v0, v0, 2.0, -v61
	v_fma_f16 v2, v2, 2.0, -v57
	v_sub_f16_e32 v69, v67, v70
	v_fma_f16 v70, v57, 2.0, -v35
	v_mov_b32_e32 v57, 0xcc
	v_sub_f16_e32 v71, v0, v71
	v_sub_f16_e32 v7, v61, v7
	v_add_f16_e32 v62, v4, v62
	v_cndmask_b32_e64 v57, 0, v57, s[0:1]
	v_fma_f16 v0, v0, 2.0, -v71
	v_fma_f16 v61, v61, 2.0, -v7
	;; [unrolled: 1-line block ×3, first 2 shown]
	v_add_u32_e32 v36, v36, v57
	v_sub_f16_e32 v5, v64, v5
	v_add_lshl_u32 v57, v22, v36, 2
	v_pack_b32_f16 v0, v0, v72
	v_pack_b32_f16 v4, v61, v4
	v_fma_f16 v64, v64, 2.0, -v5
	v_fma_f16 v63, v63, 2.0, -v65
	ds_write2_b32 v57, v0, v4 offset1:51
	v_pack_b32_f16 v0, v71, v3
	v_pack_b32_f16 v3, v7, v62
	v_sub_f16_e32 v63, v1, v63
	v_sub_f16_e32 v32, v64, v32
	v_add_f16_e32 v65, v5, v65
	ds_write2_b32 v57, v0, v3 offset0:102 offset1:153
	v_mul_u32_u24_e32 v0, 0xcc, v37
	v_fma_f16 v1, v1, 2.0, -v63
	v_fma_f16 v64, v64, 2.0, -v32
	;; [unrolled: 1-line block ×3, first 2 shown]
	v_sub_f16_e32 v6, v68, v6
	v_add_u32_e32 v0, v0, v58
	v_fma_f16 v68, v68, 2.0, -v6
	v_fma_f16 v67, v67, 2.0, -v69
	v_add_lshl_u32 v58, v22, v0, 2
	v_pack_b32_f16 v0, v1, v64
	v_pack_b32_f16 v1, v66, v5
	v_sub_f16_e32 v67, v2, v67
	v_sub_f16_e32 v33, v68, v33
	v_add_f16_e32 v69, v6, v69
	ds_write2_b32 v58, v0, v1 offset1:51
	v_pack_b32_f16 v0, v63, v32
	v_pack_b32_f16 v1, v34, v65
	v_fma_f16 v2, v2, 2.0, -v67
	v_fma_f16 v68, v68, 2.0, -v33
	;; [unrolled: 1-line block ×3, first 2 shown]
	ds_write2_b32 v58, v0, v1 offset0:102 offset1:153
	v_mad_legacy_u16 v0, v59, s14, v60
	v_add_lshl_u32 v59, v22, v0, 2
	v_pack_b32_f16 v0, v2, v68
	v_pack_b32_f16 v1, v70, v6
	ds_write2_b32 v59, v0, v1 offset1:51
	v_pack_b32_f16 v0, v67, v33
	v_mad_u64_u32 v[32:33], s[0:1], v42, 20, s[2:3]
	v_pack_b32_f16 v1, v35, v69
	ds_write2_b32 v59, v0, v1 offset0:102 offset1:153
	s_waitcnt lgkmcnt(0)
	s_barrier
	global_load_dwordx4 v[0:3], v[32:33], off offset:748
	global_load_dword v60, v[32:33], off offset:764
	global_load_dwordx4 v[4:7], v[32:33], off offset:2788
	global_load_dword v61, v[32:33], off offset:2804
	ds_read2_b32 v[36:37], v52 offset1:102
	ds_read2_b32 v[32:33], v39 offset0:76 offset1:178
	ds_read2_b32 v[34:35], v38 offset0:152 offset1:254
	;; [unrolled: 1-line block ×5, first 2 shown]
	s_waitcnt lgkmcnt(4)
	v_lshrrev_b32_e32 v44, 16, v32
	s_waitcnt lgkmcnt(3)
	v_lshrrev_b32_e32 v64, 16, v34
	s_waitcnt lgkmcnt(2)
	v_lshrrev_b32_e32 v65, 16, v38
	s_waitcnt lgkmcnt(1)
	v_lshrrev_b32_e32 v66, 16, v40
	s_waitcnt lgkmcnt(0)
	v_lshrrev_b32_e32 v67, 16, v62
	v_lshrrev_b32_e32 v68, 16, v33
	v_lshrrev_b32_e32 v69, 16, v35
	;; [unrolled: 1-line block ×7, first 2 shown]
	s_waitcnt vmcnt(3)
	v_mul_f16_sdwa v74, v44, v0 dst_sel:DWORD dst_unused:UNUSED_PAD src0_sel:DWORD src1_sel:WORD_1
	v_fma_f16 v74, v32, v0, -v74
	v_mul_f16_sdwa v32, v32, v0 dst_sel:DWORD dst_unused:UNUSED_PAD src0_sel:DWORD src1_sel:WORD_1
	v_fma_f16 v32, v44, v0, v32
	v_mul_f16_sdwa v44, v64, v1 dst_sel:DWORD dst_unused:UNUSED_PAD src0_sel:DWORD src1_sel:WORD_1
	v_fma_f16 v44, v34, v1, -v44
	v_mul_f16_sdwa v34, v34, v1 dst_sel:DWORD dst_unused:UNUSED_PAD src0_sel:DWORD src1_sel:WORD_1
	v_fma_f16 v34, v64, v1, v34
	;; [unrolled: 4-line block ×4, first 2 shown]
	s_waitcnt vmcnt(2)
	v_mul_f16_sdwa v66, v67, v60 dst_sel:DWORD dst_unused:UNUSED_PAD src0_sel:DWORD src1_sel:WORD_1
	v_fma_f16 v66, v62, v60, -v66
	v_mul_f16_sdwa v62, v62, v60 dst_sel:DWORD dst_unused:UNUSED_PAD src0_sel:DWORD src1_sel:WORD_1
	v_fma_f16 v62, v67, v60, v62
	s_waitcnt vmcnt(1)
	v_mul_f16_sdwa v67, v68, v4 dst_sel:DWORD dst_unused:UNUSED_PAD src0_sel:DWORD src1_sel:WORD_1
	v_fma_f16 v75, v33, v4, -v67
	v_mul_f16_sdwa v33, v33, v4 dst_sel:DWORD dst_unused:UNUSED_PAD src0_sel:DWORD src1_sel:WORD_1
	v_fma_f16 v76, v68, v4, v33
	v_mul_f16_sdwa v33, v69, v5 dst_sel:DWORD dst_unused:UNUSED_PAD src0_sel:DWORD src1_sel:WORD_1
	v_fma_f16 v77, v35, v5, -v33
	v_mul_f16_sdwa v33, v35, v5 dst_sel:DWORD dst_unused:UNUSED_PAD src0_sel:DWORD src1_sel:WORD_1
	v_fma_f16 v78, v69, v5, v33
	;; [unrolled: 4-line block ×4, first 2 shown]
	s_waitcnt vmcnt(0)
	v_mul_f16_sdwa v33, v73, v61 dst_sel:DWORD dst_unused:UNUSED_PAD src0_sel:DWORD src1_sel:WORD_1
	v_fma_f16 v72, v63, v61, -v33
	v_mul_f16_sdwa v33, v63, v61 dst_sel:DWORD dst_unused:UNUSED_PAD src0_sel:DWORD src1_sel:WORD_1
	v_fma_f16 v73, v73, v61, v33
	v_add_f16_e32 v33, v36, v44
	v_add_f16_e32 v35, v33, v65
	v_add_f16_e32 v33, v44, v65
	v_fma_f16 v33, v33, -0.5, v36
	v_sub_f16_e32 v36, v34, v40
	v_fma_f16 v68, v36, s5, v33
	v_fma_f16 v36, v36, s4, v33
	v_add_f16_e32 v33, v22, v34
	v_add_f16_e32 v69, v33, v40
	v_add_f16_e32 v33, v34, v40
	v_fma_f16 v22, v33, -0.5, v22
	v_sub_f16_e32 v33, v44, v65
	v_fma_f16 v40, v33, s4, v22
	;; [unrolled: 7-line block ×4, first 2 shown]
	v_fma_f16 v62, v33, s5, v32
	v_mul_f16_e32 v32, 0x3aee, v38
	v_fma_f16 v74, v65, 0.5, v32
	v_mul_f16_e32 v33, -0.5, v44
	v_mul_f16_e32 v65, 0xbaee, v65
	v_fma_f16 v81, v62, s5, v33
	v_fma_f16 v38, v38, 0.5, v65
	v_mul_f16_e32 v62, -0.5, v62
	v_add_f16_e32 v63, v35, v34
	v_add_f16_e32 v32, v68, v74
	;; [unrolled: 1-line block ×4, first 2 shown]
	v_fma_f16 v44, v44, s4, v62
	v_sub_f16_e32 v34, v35, v34
	v_sub_f16_e32 v35, v68, v74
	;; [unrolled: 1-line block ×4, first 2 shown]
	v_add_f16_e32 v38, v77, v80
	v_add_f16_e32 v67, v22, v44
	v_sub_f16_e32 v70, v22, v44
	v_add_f16_e32 v22, v37, v77
	v_fma_f16 v37, v38, -0.5, v37
	v_sub_f16_e32 v38, v78, v41
	v_fma_f16 v44, v38, s5, v37
	v_fma_f16 v62, v38, s4, v37
	v_add_f16_e32 v37, v71, v78
	v_add_f16_e32 v65, v37, v41
	v_add_f16_e32 v37, v78, v41
	v_fma_f16 v37, v37, -0.5, v71
	v_sub_f16_e32 v38, v77, v80
	v_fma_f16 v77, v38, s4, v37
	v_fma_f16 v78, v38, s5, v37
	v_add_f16_e32 v37, v75, v79
	v_add_f16_e32 v40, v37, v72
	;; [unrolled: 7-line block ×3, first 2 shown]
	v_add_f16_e32 v37, v39, v73
	v_fma_f16 v37, v37, -0.5, v76
	v_sub_f16_e32 v38, v79, v72
	v_fma_f16 v72, v38, s4, v37
	v_fma_f16 v73, v38, s5, v37
	v_mul_f16_e32 v38, 0x3aee, v72
	v_fma_f16 v76, v41, 0.5, v38
	v_mul_f16_e32 v39, -0.5, v74
	v_mul_f16_e32 v41, 0xbaee, v41
	v_add_f16_e32 v22, v22, v80
	v_fma_f16 v79, v73, s5, v39
	v_fma_f16 v80, v72, 0.5, v41
	v_mul_f16_e32 v41, -0.5, v73
	v_add_f16_e32 v33, v36, v81
	v_sub_f16_e32 v36, v36, v81
	v_add_f16_e32 v37, v22, v40
	v_add_f16_e32 v38, v44, v76
	v_add_f16_e32 v39, v62, v79
	v_add_f16_e32 v71, v65, v75
	v_fma_f16 v81, v74, s4, v41
	v_sub_f16_e32 v40, v22, v40
	v_sub_f16_e32 v41, v44, v76
	;; [unrolled: 1-line block ×3, first 2 shown]
	v_lshl_add_u32 v62, v42, 2, v45
	v_pack_b32_f16 v44, v63, v64
	v_add_f16_e32 v72, v77, v80
	v_sub_f16_e32 v74, v65, v75
	v_sub_f16_e32 v75, v77, v80
	ds_write_b32 v62, v44
	v_lshl_add_u32 v44, v42, 2, v45
	v_pack_b32_f16 v65, v32, v66
	v_pack_b32_f16 v77, v37, v71
	v_add_f16_e32 v73, v78, v81
	v_sub_f16_e32 v76, v78, v81
	v_pack_b32_f16 v78, v33, v67
	ds_write2_b32 v44, v77, v65 offset0:102 offset1:204
	v_pack_b32_f16 v65, v38, v72
	v_add_u32_e32 v77, 0x400, v44
	v_pack_b32_f16 v79, v34, v68
	ds_write2_b32 v77, v65, v78 offset0:50 offset1:152
	v_pack_b32_f16 v65, v39, v73
	v_add_u32_e32 v78, 0x600, v44
	;; [unrolled: 4-line block ×4, first 2 shown]
	ds_write2_b32 v65, v79, v81 offset0:150 offset1:252
	v_pack_b32_f16 v79, v22, v76
	ds_write_b32 v44, v79 offset:4488
	s_waitcnt lgkmcnt(0)
	s_barrier
	s_and_saveexec_b64 s[2:3], vcc
	s_cbranch_execz .LBB0_9
; %bb.8:
	s_add_u32 s4, s6, 0x1320
	s_addc_u32 s5, s7, 0
	global_load_dword v81, v43, s[4:5]
	global_load_dword v89, v43, s[4:5] offset:288
	global_load_dword v90, v43, s[4:5] offset:576
	global_load_dword v91, v43, s[4:5] offset:864
	global_load_dword v92, v43, s[4:5] offset:1152
	global_load_dword v93, v43, s[4:5] offset:1440
	global_load_dword v94, v43, s[4:5] offset:1728
	global_load_dword v95, v43, s[4:5] offset:2016
	global_load_dword v96, v43, s[4:5] offset:2304
	ds_read_b32 v82, v62
	global_load_dword v99, v43, s[4:5] offset:2592
	global_load_dword v100, v43, s[4:5] offset:2880
	;; [unrolled: 1-line block ×6, first 2 shown]
	v_mov_b32_e32 v79, s5
	v_add_co_u32_e64 v80, s[0:1], s4, v43
	s_movk_i32 s14, 0x1000
	v_addc_co_u32_e64 v84, s[0:1], 0, v79, s[0:1]
	v_add_co_u32_e64 v79, s[0:1], s14, v80
	v_addc_co_u32_e64 v80, s[0:1], 0, v84, s[0:1]
	v_or_b32_e32 v83, 0x1200, v43
	global_load_dword v105, v[79:80], off offset:224
	global_load_dword v106, v83, s[4:5]
	s_waitcnt lgkmcnt(0)
	v_lshrrev_b32_e32 v84, 16, v82
	v_add_u32_e32 v97, 0x200, v44
	v_add_u32_e32 v98, 0x800, v44
	s_waitcnt vmcnt(16)
	v_mul_f16_sdwa v79, v84, v81 dst_sel:DWORD dst_unused:UNUSED_PAD src0_sel:DWORD src1_sel:WORD_1
	v_mul_f16_sdwa v80, v82, v81 dst_sel:DWORD dst_unused:UNUSED_PAD src0_sel:DWORD src1_sel:WORD_1
	v_fma_f16 v79, v82, v81, -v79
	v_fma_f16 v80, v84, v81, v80
	v_pack_b32_f16 v79, v79, v80
	ds_write_b32 v62, v79
	ds_read2_b32 v[79:80], v44 offset0:72 offset1:144
	ds_read2_b32 v[81:82], v97 offset0:88 offset1:160
	;; [unrolled: 1-line block ×5, first 2 shown]
	s_waitcnt lgkmcnt(4)
	v_lshrrev_b32_e32 v107, 16, v79
	s_waitcnt vmcnt(15)
	v_mul_f16_sdwa v108, v79, v89 dst_sel:DWORD dst_unused:UNUSED_PAD src0_sel:DWORD src1_sel:WORD_1
	v_lshrrev_b32_e32 v109, 16, v80
	s_waitcnt vmcnt(14)
	v_mul_f16_sdwa v110, v80, v90 dst_sel:DWORD dst_unused:UNUSED_PAD src0_sel:DWORD src1_sel:WORD_1
	s_waitcnt lgkmcnt(3)
	v_lshrrev_b32_e32 v111, 16, v81
	s_waitcnt vmcnt(13)
	v_mul_f16_sdwa v112, v81, v91 dst_sel:DWORD dst_unused:UNUSED_PAD src0_sel:DWORD src1_sel:WORD_1
	v_lshrrev_b32_e32 v113, 16, v82
	s_waitcnt vmcnt(12)
	v_mul_f16_sdwa v114, v82, v92 dst_sel:DWORD dst_unused:UNUSED_PAD src0_sel:DWORD src1_sel:WORD_1
	;; [unrolled: 7-line block ×3, first 2 shown]
	s_waitcnt lgkmcnt(1)
	v_lshrrev_b32_e32 v119, 16, v85
	s_waitcnt vmcnt(9)
	v_mul_f16_sdwa v120, v85, v95 dst_sel:DWORD dst_unused:UNUSED_PAD src0_sel:DWORD src1_sel:WORD_1
	v_lshrrev_b32_e32 v121, 16, v86
	v_mul_f16_sdwa v123, v107, v89 dst_sel:DWORD dst_unused:UNUSED_PAD src0_sel:DWORD src1_sel:WORD_1
	v_fma_f16 v107, v107, v89, v108
	v_mul_f16_sdwa v108, v109, v90 dst_sel:DWORD dst_unused:UNUSED_PAD src0_sel:DWORD src1_sel:WORD_1
	s_waitcnt vmcnt(8)
	v_mul_f16_sdwa v122, v86, v96 dst_sel:DWORD dst_unused:UNUSED_PAD src0_sel:DWORD src1_sel:WORD_1
	v_fma_f16 v109, v109, v90, v110
	v_mul_f16_sdwa v110, v111, v91 dst_sel:DWORD dst_unused:UNUSED_PAD src0_sel:DWORD src1_sel:WORD_1
	v_fma_f16 v111, v111, v91, v112
	;; [unrolled: 2-line block ×6, first 2 shown]
	v_mul_f16_sdwa v120, v121, v96 dst_sel:DWORD dst_unused:UNUSED_PAD src0_sel:DWORD src1_sel:WORD_1
	v_fma_f16 v79, v79, v89, -v123
	v_fma_f16 v80, v80, v90, -v108
	v_fma_f16 v121, v121, v96, v122
	v_fma_f16 v81, v81, v91, -v110
	v_fma_f16 v82, v82, v92, -v112
	;; [unrolled: 1-line block ×6, first 2 shown]
	v_pack_b32_f16 v79, v79, v107
	v_pack_b32_f16 v80, v80, v109
	v_pack_b32_f16 v81, v81, v111
	v_pack_b32_f16 v82, v82, v113
	v_pack_b32_f16 v83, v83, v115
	v_pack_b32_f16 v84, v84, v117
	v_pack_b32_f16 v85, v85, v119
	v_pack_b32_f16 v86, v86, v121
	ds_write2_b32 v44, v79, v80 offset0:72 offset1:144
	ds_write2_b32 v97, v81, v82 offset0:88 offset1:160
	;; [unrolled: 1-line block ×4, first 2 shown]
	s_waitcnt lgkmcnt(4)
	v_lshrrev_b32_e32 v77, 16, v87
	s_waitcnt vmcnt(7)
	v_mul_f16_sdwa v78, v77, v99 dst_sel:DWORD dst_unused:UNUSED_PAD src0_sel:DWORD src1_sel:WORD_1
	v_mul_f16_sdwa v79, v87, v99 dst_sel:DWORD dst_unused:UNUSED_PAD src0_sel:DWORD src1_sel:WORD_1
	v_fma_f16 v78, v87, v99, -v78
	v_fma_f16 v77, v77, v99, v79
	v_lshrrev_b32_e32 v80, 16, v88
	v_pack_b32_f16 v79, v78, v77
	s_waitcnt vmcnt(6)
	v_mul_f16_sdwa v77, v80, v100 dst_sel:DWORD dst_unused:UNUSED_PAD src0_sel:DWORD src1_sel:WORD_1
	v_fma_f16 v81, v88, v100, -v77
	ds_read2_b32 v[77:78], v65 offset0:24 offset1:96
	v_mul_f16_sdwa v82, v88, v100 dst_sel:DWORD dst_unused:UNUSED_PAD src0_sel:DWORD src1_sel:WORD_1
	v_fma_f16 v80, v80, v100, v82
	v_pack_b32_f16 v80, v81, v80
	ds_write2_b32 v98, v79, v80 offset0:136 offset1:208
	s_waitcnt lgkmcnt(1)
	v_lshrrev_b32_e32 v79, 16, v77
	s_waitcnt vmcnt(5)
	v_mul_f16_sdwa v80, v79, v101 dst_sel:DWORD dst_unused:UNUSED_PAD src0_sel:DWORD src1_sel:WORD_1
	v_fma_f16 v80, v77, v101, -v80
	v_mul_f16_sdwa v77, v77, v101 dst_sel:DWORD dst_unused:UNUSED_PAD src0_sel:DWORD src1_sel:WORD_1
	v_lshrrev_b32_e32 v81, 16, v78
	v_fma_f16 v77, v79, v101, v77
	s_waitcnt vmcnt(4)
	v_mul_f16_sdwa v79, v81, v102 dst_sel:DWORD dst_unused:UNUSED_PAD src0_sel:DWORD src1_sel:WORD_1
	v_pack_b32_f16 v77, v80, v77
	v_fma_f16 v82, v78, v102, -v79
	ds_read2_b32 v[79:80], v65 offset0:168 offset1:240
	v_mul_f16_sdwa v78, v78, v102 dst_sel:DWORD dst_unused:UNUSED_PAD src0_sel:DWORD src1_sel:WORD_1
	v_fma_f16 v78, v81, v102, v78
	v_pack_b32_f16 v78, v82, v78
	ds_write2_b32 v65, v77, v78 offset0:24 offset1:96
	s_waitcnt lgkmcnt(1)
	v_lshrrev_b32_e32 v77, 16, v79
	s_waitcnt vmcnt(3)
	v_mul_f16_sdwa v78, v77, v103 dst_sel:DWORD dst_unused:UNUSED_PAD src0_sel:DWORD src1_sel:WORD_1
	v_fma_f16 v78, v79, v103, -v78
	v_mul_f16_sdwa v79, v79, v103 dst_sel:DWORD dst_unused:UNUSED_PAD src0_sel:DWORD src1_sel:WORD_1
	v_fma_f16 v77, v77, v103, v79
	v_lshrrev_b32_e32 v81, 16, v80
	v_pack_b32_f16 v79, v78, v77
	s_waitcnt vmcnt(2)
	v_mul_f16_sdwa v77, v81, v104 dst_sel:DWORD dst_unused:UNUSED_PAD src0_sel:DWORD src1_sel:WORD_1
	v_add_u32_e32 v83, 0x1000, v44
	v_fma_f16 v82, v80, v104, -v77
	ds_read2_b32 v[77:78], v83 offset0:56 offset1:128
	v_mul_f16_sdwa v80, v80, v104 dst_sel:DWORD dst_unused:UNUSED_PAD src0_sel:DWORD src1_sel:WORD_1
	v_fma_f16 v80, v81, v104, v80
	v_pack_b32_f16 v80, v82, v80
	ds_write2_b32 v65, v79, v80 offset0:168 offset1:240
	s_waitcnt lgkmcnt(1)
	v_lshrrev_b32_e32 v65, 16, v77
	s_waitcnt vmcnt(1)
	v_mul_f16_sdwa v79, v65, v105 dst_sel:DWORD dst_unused:UNUSED_PAD src0_sel:DWORD src1_sel:WORD_1
	v_fma_f16 v79, v77, v105, -v79
	v_mul_f16_sdwa v77, v77, v105 dst_sel:DWORD dst_unused:UNUSED_PAD src0_sel:DWORD src1_sel:WORD_1
	v_fma_f16 v65, v65, v105, v77
	v_lshrrev_b32_e32 v77, 16, v78
	v_pack_b32_f16 v65, v79, v65
	s_waitcnt vmcnt(0)
	v_mul_f16_sdwa v79, v77, v106 dst_sel:DWORD dst_unused:UNUSED_PAD src0_sel:DWORD src1_sel:WORD_1
	v_fma_f16 v79, v78, v106, -v79
	v_mul_f16_sdwa v78, v78, v106 dst_sel:DWORD dst_unused:UNUSED_PAD src0_sel:DWORD src1_sel:WORD_1
	v_fma_f16 v77, v77, v106, v78
	v_pack_b32_f16 v77, v79, v77
	ds_write2_b32 v83, v65, v77 offset0:56 offset1:128
.LBB0_9:
	s_or_b64 exec, exec, s[2:3]
	s_waitcnt lgkmcnt(0)
	s_barrier
	s_and_saveexec_b64 s[0:1], vcc
	s_cbranch_execz .LBB0_11
; %bb.10:
	v_add_u32_e32 v18, 0x200, v62
	ds_read_b32 v63, v62
	ds_read2_b32 v[32:33], v62 offset0:72 offset1:144
	ds_read2_b32 v[34:35], v18 offset0:88 offset1:160
	v_add_u32_e32 v18, 0x400, v62
	ds_read2_b32 v[36:37], v18 offset0:104 offset1:176
	v_add_u32_e32 v18, 0x600, v62
	;; [unrolled: 2-line block ×4, first 2 shown]
	v_add_u32_e32 v20, 0x1000, v62
	ds_read2_b32 v[22:23], v18 offset0:24 offset1:96
	ds_read2_b32 v[18:19], v18 offset0:168 offset1:240
	;; [unrolled: 1-line block ×3, first 2 shown]
	s_waitcnt lgkmcnt(8)
	v_lshrrev_b32_e32 v64, 16, v63
	s_waitcnt lgkmcnt(7)
	v_lshrrev_b32_e32 v66, 16, v32
	v_lshrrev_b32_e32 v67, 16, v33
	s_waitcnt lgkmcnt(6)
	v_lshrrev_b32_e32 v68, 16, v34
	;; [unrolled: 3-line block ×8, first 2 shown]
	v_lshrrev_b32_e32 v51, 16, v21
.LBB0_11:
	s_or_b64 exec, exec, s[0:1]
	v_add_u32_e32 v65, 0x198, v44
	s_barrier
	s_and_saveexec_b64 s[0:1], vcc
	s_cbranch_execz .LBB0_13
; %bb.12:
	v_sub_f16_e32 v77, v32, v21
	v_mul_f16_e32 v101, 0xba62, v77
	v_add_f16_e32 v102, v51, v66
	s_mov_b32 s2, 0xb8d2
	v_fma_f16 v78, v102, s2, v101
	v_add_f16_e32 v79, v64, v78
	v_sub_f16_e32 v78, v33, v20
	v_mul_f16_e32 v103, 0x3bb2, v78
	v_add_f16_e32 v104, v47, v67
	s_mov_b32 s3, 0xb461
	v_fma_f16 v80, v104, s3, v103
	v_add_f16_e32 v79, v80, v79
	v_sub_f16_e32 v80, v34, v19
	v_mul_f16_e32 v105, 0xb5c8, v80
	v_add_f16_e32 v106, v48, v68
	s_movk_i32 s14, 0x3b76
	v_fma_f16 v81, v106, s14, v105
	v_add_f16_e32 v79, v81, v79
	v_sub_f16_e32 v81, v35, v18
	v_mul_f16_e32 v107, 0xb836, v81
	v_add_f16_e32 v108, v49, v69
	s_mov_b32 s5, 0xbacd
	v_fma_f16 v82, v108, s5, v107
	v_add_f16_e32 v79, v82, v79
	v_sub_f16_e32 v82, v36, v23
	v_mul_f16_e32 v109, 0x3bf7, v82
	v_add_f16_e32 v110, v50, v70
	s_movk_i32 s16, 0x2de8
	v_fma_f16 v83, v110, s16, v109
	v_add_f16_e32 v79, v83, v79
	v_sub_f16_e32 v83, v37, v22
	v_mul_f16_e32 v111, 0xb964, v83
	v_add_f16_e32 v112, v76, v71
	v_fma_f16 v84, v112, s19, v111
	v_add_f16_e32 v79, v84, v79
	v_sub_f16_e32 v84, v38, v41
	v_mul_f16_e32 v113, 0xb1e1, v84
	v_add_f16_e32 v114, v75, v72
	s_mov_b32 s18, 0xbbdd
	v_fma_f16 v85, v114, s18, v113
	v_add_f16_e32 v79, v85, v79
	v_sub_f16_e32 v85, v39, v40
	v_mul_f16_e32 v115, 0x3b29, v85
	v_add_f16_e32 v116, v74, v73
	s_movk_i32 s22, 0x3722
	v_fma_f16 v86, v116, s22, v115
	v_sub_f16_e32 v117, v66, v51
	v_add_f16_e32 v79, v86, v79
	v_add_f16_e32 v86, v21, v32
	v_mul_f16_e32 v118, 0xba62, v117
	v_fma_f16 v101, v102, s2, -v101
	v_fma_f16 v87, v86, s2, -v118
	v_sub_f16_e32 v119, v67, v47
	v_add_f16_e32 v101, v64, v101
	v_fma_f16 v103, v104, s3, -v103
	v_add_f16_e32 v88, v63, v87
	v_add_f16_e32 v87, v20, v33
	v_mul_f16_e32 v120, 0x3bb2, v119
	v_add_f16_e32 v101, v103, v101
	v_fma_f16 v103, v106, s14, -v105
	v_fma_f16 v89, v87, s3, -v120
	v_sub_f16_e32 v121, v68, v48
	v_add_f16_e32 v101, v103, v101
	v_fma_f16 v103, v108, s5, -v107
	v_add_f16_e32 v89, v89, v88
	v_add_f16_e32 v88, v19, v34
	v_mul_f16_e32 v122, 0xb5c8, v121
	v_add_f16_e32 v101, v103, v101
	;; [unrolled: 9-line block ×4, first 2 shown]
	v_fma_f16 v103, v86, s2, v118
	v_fma_f16 v92, v91, s16, -v126
	v_sub_f16_e32 v127, v71, v76
	v_add_f16_e32 v103, v63, v103
	v_fma_f16 v105, v87, s3, v120
	v_add_f16_e32 v89, v92, v89
	v_add_f16_e32 v92, v22, v37
	v_mul_f16_e32 v128, 0xb964, v127
	v_add_f16_e32 v103, v105, v103
	v_fma_f16 v105, v88, s14, v122
	v_fma_f16 v93, v92, s19, -v128
	v_sub_f16_e32 v129, v72, v75
	v_add_f16_e32 v103, v105, v103
	v_fma_f16 v105, v90, s5, v124
	v_add_f16_e32 v89, v93, v89
	v_add_f16_e32 v93, v41, v38
	v_mul_f16_e32 v130, 0xb1e1, v129
	v_add_f16_e32 v103, v105, v103
	;; [unrolled: 9-line block ×3, first 2 shown]
	v_fma_f16 v105, v93, s18, v130
	v_add_f16_e32 v103, v105, v103
	v_fma_f16 v105, v94, s22, v132
	s_movk_i32 s21, 0x3bb2
	v_add_f16_e32 v103, v105, v103
	v_mul_f16_e32 v105, 0xb461, v102
	s_mov_b32 s15, 0xb836
	v_fma_f16 v107, v77, s21, v105
	v_mul_f16_e32 v109, 0xbacd, v104
	v_add_f16_e32 v107, v64, v107
	v_fma_f16 v111, v78, s15, v109
	s_mov_b32 s23, 0xb964
	v_add_f16_e32 v107, v111, v107
	v_mul_f16_e32 v111, 0x39e9, v106
	v_fma_f16 v95, v94, s22, -v132
	v_mul_f16_e32 v133, 0xb836, v77
	v_fma_f16 v113, v80, s23, v111
	s_movk_i32 s24, 0x3b29
	v_add_f16_e32 v89, v95, v89
	v_fma_f16 v95, v102, s5, v133
	v_mul_f16_e32 v134, 0x3b29, v78
	v_fma_f16 v133, v102, s5, -v133
	v_add_f16_e32 v107, v113, v107
	v_mul_f16_e32 v113, 0x3722, v108
	v_fma_f16 v96, v104, s22, v134
	v_mul_f16_e32 v135, 0xbbf7, v80
	v_add_f16_e32 v133, v64, v133
	v_fma_f16 v134, v104, s22, -v134
	v_fma_f16 v115, v81, s24, v113
	v_mul_f16_e32 v136, 0x3a62, v81
	v_add_f16_e32 v133, v134, v133
	v_fma_f16 v134, v106, s16, -v135
	v_add_f16_e32 v107, v115, v107
	v_mul_f16_e32 v115, 0xbbdd, v110
	s_movk_i32 s34, 0x31e1
	v_mul_f16_e32 v137, 0xb5c8, v82
	v_add_f16_e32 v133, v134, v133
	v_fma_f16 v134, v108, s2, -v136
	v_fma_f16 v118, v82, s34, v115
	v_add_f16_e32 v95, v64, v95
	s_mov_b32 s25, 0xbbf7
	v_mul_f16_e32 v138, 0xb1e1, v83
	v_add_f16_e32 v133, v134, v133
	v_fma_f16 v134, v110, s14, -v137
	v_add_f16_e32 v107, v118, v107
	v_mul_f16_e32 v118, 0x2de8, v112
	v_add_f16_e32 v95, v96, v95
	v_fma_f16 v96, v106, s16, v135
	v_mul_f16_e32 v139, 0x3964, v84
	v_add_f16_e32 v133, v134, v133
	v_fma_f16 v134, v112, s18, -v138
	v_fma_f16 v120, v83, s25, v118
	v_add_f16_e32 v95, v96, v95
	v_fma_f16 v96, v108, s2, v136
	v_mul_f16_e32 v140, 0xbbb2, v85
	s_movk_i32 s28, 0x35c8
	v_add_f16_e32 v133, v134, v133
	v_fma_f16 v134, v114, s19, -v139
	v_add_f16_e32 v107, v120, v107
	v_mul_f16_e32 v120, 0x3b76, v114
	v_add_f16_e32 v95, v96, v95
	v_fma_f16 v96, v110, s14, v137
	v_mul_f16_e32 v141, 0xb836, v117
	v_add_f16_e32 v133, v134, v133
	v_fma_f16 v134, v116, s3, -v140
	v_fma_f16 v122, v84, s28, v120
	s_movk_i32 s30, 0x3a62
	v_add_f16_e32 v95, v96, v95
	v_fma_f16 v96, v112, s18, v138
	v_mul_f16_e32 v142, 0x3b29, v119
	v_add_f16_e32 v133, v134, v133
	v_fma_f16 v134, v86, s5, v141
	v_add_f16_e32 v107, v122, v107
	v_mul_f16_e32 v122, 0xb8d2, v116
	v_add_f16_e32 v95, v96, v95
	v_fma_f16 v96, v114, s19, v139
	v_mul_f16_e32 v143, 0xbbf7, v121
	v_add_f16_e32 v134, v63, v134
	v_fma_f16 v135, v87, s22, v142
	v_fma_f16 v124, v85, s30, v122
	v_add_f16_e32 v95, v96, v95
	v_fma_f16 v96, v116, s3, v140
	v_mul_f16_e32 v144, 0x3a62, v123
	v_add_f16_e32 v134, v135, v134
	v_fma_f16 v135, v88, s16, v143
	v_add_f16_e32 v107, v124, v107
	v_mul_f16_e32 v124, 0xbbb2, v117
	v_add_f16_e32 v95, v96, v95
	v_fma_f16 v96, v86, s5, -v141
	v_mul_f16_e32 v145, 0xb5c8, v125
	v_add_f16_e32 v134, v135, v134
	v_fma_f16 v135, v90, s2, v144
	v_fma_f16 v126, v86, s3, v124
	v_mul_f16_e32 v128, 0x3836, v119
	v_add_f16_e32 v96, v63, v96
	v_fma_f16 v97, v87, s22, -v142
	v_mul_f16_e32 v146, 0xb1e1, v127
	v_add_f16_e32 v134, v135, v134
	v_fma_f16 v135, v91, s14, v145
	v_add_f16_e32 v126, v63, v126
	v_fma_f16 v130, v87, s5, v128
	v_add_f16_e32 v96, v97, v96
	v_fma_f16 v97, v88, s16, -v143
	v_mul_f16_e32 v147, 0x3964, v129
	v_add_f16_e32 v134, v135, v134
	v_fma_f16 v135, v92, s18, v146
	v_add_f16_e32 v126, v130, v126
	v_mul_f16_e32 v130, 0x3964, v121
	v_add_f16_e32 v96, v97, v96
	v_fma_f16 v97, v90, s2, -v144
	v_mul_f16_e32 v148, 0xbbb2, v131
	v_add_f16_e32 v134, v135, v134
	v_fma_f16 v135, v93, s19, v147
	v_fma_f16 v132, v88, s19, v130
	v_add_f16_e32 v96, v97, v96
	v_fma_f16 v97, v91, s14, -v145
	v_add_f16_e32 v134, v135, v134
	v_fma_f16 v135, v94, s3, v148
	v_add_f16_e32 v126, v132, v126
	v_mul_f16_e32 v132, 0xbb29, v123
	v_add_f16_e32 v96, v97, v96
	v_fma_f16 v97, v92, s18, -v146
	v_add_f16_e32 v134, v135, v134
	v_fma_f16 v135, v90, s22, v132
	v_add_f16_e32 v96, v97, v96
	v_fma_f16 v97, v93, s19, -v147
	v_add_f16_e32 v126, v135, v126
	v_mul_f16_e32 v135, 0xb1e1, v125
	v_add_f16_e32 v96, v97, v96
	v_fma_f16 v97, v94, s3, -v148
	v_mul_f16_e32 v99, 0xb1e1, v77
	v_fma_f16 v136, v91, s18, v135
	v_add_f16_e32 v96, v97, v96
	v_fma_f16 v97, v102, s18, v99
	v_mul_f16_e32 v100, 0x35c8, v78
	v_add_f16_e32 v126, v136, v126
	v_mul_f16_e32 v136, 0x3bf7, v127
	v_add_f16_e32 v97, v64, v97
	v_fma_f16 v98, v104, s14, v100
	v_mul_f16_e32 v149, 0xb836, v80
	v_fma_f16 v137, v92, s16, v136
	v_add_f16_e32 v97, v98, v97
	v_fma_f16 v98, v106, s5, v149
	v_mul_f16_e32 v150, 0x3964, v81
	v_add_f16_e32 v126, v137, v126
	v_mul_f16_e32 v137, 0xb5c8, v129
	v_add_f16_e32 v97, v98, v97
	v_fma_f16 v98, v108, s19, v150
	;; [unrolled: 9-line block ×3, first 2 shown]
	v_mul_f16_e32 v153, 0xbbb2, v84
	v_fma_f16 v139, v94, s2, v138
	s_movk_i32 s27, 0x3bf7
	v_add_f16_e32 v97, v98, v97
	v_fma_f16 v98, v114, s3, v153
	v_mul_f16_e32 v154, 0x3bf7, v85
	v_fma_f16 v99, v102, s18, -v99
	v_add_f16_e32 v126, v139, v126
	v_mul_f16_e32 v139, 0x2de8, v102
	v_add_f16_e32 v97, v98, v97
	v_fma_f16 v98, v116, s16, v154
	v_mul_f16_e32 v155, 0xb1e1, v117
	v_add_f16_e32 v99, v64, v99
	v_fma_f16 v100, v104, s14, -v100
	v_fma_f16 v140, v77, s27, v139
	v_mul_f16_e32 v141, 0xbbdd, v104
	v_add_f16_e32 v97, v98, v97
	v_fma_f16 v98, v86, s18, -v155
	v_mul_f16_e32 v156, 0x35c8, v119
	v_add_f16_e32 v99, v100, v99
	v_fma_f16 v100, v106, s5, -v149
	v_add_f16_e32 v140, v64, v140
	v_fma_f16 v142, v78, s34, v141
	s_mov_b32 s26, 0xbbb2
	v_add_f16_e32 v98, v63, v98
	v_fma_f16 v157, v87, s14, -v156
	v_add_f16_e32 v99, v100, v99
	v_fma_f16 v100, v108, s19, -v150
	v_add_f16_e32 v140, v142, v140
	v_mul_f16_e32 v142, 0xb461, v106
	v_add_f16_e32 v98, v157, v98
	v_mul_f16_e32 v157, 0xb836, v121
	v_add_f16_e32 v99, v100, v99
	v_fma_f16 v100, v110, s2, -v151
	v_fma_f16 v143, v80, s26, v142
	s_mov_b32 s17, 0xb5c8
	v_fma_f16 v158, v88, s5, -v157
	v_add_f16_e32 v99, v100, v99
	v_fma_f16 v100, v112, s22, -v152
	v_add_f16_e32 v140, v143, v140
	v_mul_f16_e32 v143, 0x3b76, v108
	v_add_f16_e32 v98, v158, v98
	v_mul_f16_e32 v158, 0x3964, v123
	v_add_f16_e32 v99, v100, v99
	v_fma_f16 v100, v114, s3, -v153
	v_fma_f16 v144, v81, s17, v143
	v_fma_f16 v159, v90, s19, -v158
	v_add_f16_e32 v99, v100, v99
	v_fma_f16 v100, v116, s16, -v154
	v_add_f16_e32 v140, v144, v140
	v_mul_f16_e32 v144, 0x3722, v110
	v_add_f16_e32 v98, v159, v98
	v_mul_f16_e32 v159, 0xba62, v125
	v_add_f16_e32 v99, v100, v99
	v_fma_f16 v100, v86, s18, v155
	v_fma_f16 v145, v82, s24, v144
	v_fma_f16 v160, v91, s2, -v159
	v_add_f16_e32 v100, v63, v100
	v_fma_f16 v149, v87, s14, v156
	s_movk_i32 s33, 0x3836
	v_add_f16_e32 v140, v145, v140
	v_mul_f16_e32 v145, 0xbacd, v112
	v_add_f16_e32 v98, v160, v98
	v_mul_f16_e32 v160, 0x3b29, v127
	v_add_f16_e32 v100, v149, v100
	v_fma_f16 v149, v88, s5, v157
	v_fma_f16 v146, v83, s33, v145
	s_mov_b32 s4, 0xba62
	v_fma_f16 v161, v92, s22, -v160
	v_add_f16_e32 v100, v149, v100
	v_fma_f16 v149, v90, s19, v158
	v_add_f16_e32 v140, v146, v140
	v_mul_f16_e32 v146, 0xb8d2, v114
	v_add_f16_e32 v98, v161, v98
	v_mul_f16_e32 v161, 0xbbb2, v129
	v_add_f16_e32 v100, v149, v100
	v_fma_f16 v149, v91, s2, v159
	v_fma_f16 v147, v84, s4, v146
	v_fma_f16 v162, v93, s3, -v161
	v_add_f16_e32 v100, v149, v100
	v_fma_f16 v149, v92, s22, v160
	v_add_f16_e32 v140, v147, v140
	v_mul_f16_e32 v147, 0x39e9, v116
	v_add_f16_e32 v32, v32, v63
	v_add_f16_e32 v98, v162, v98
	v_mul_f16_e32 v162, 0x3bf7, v131
	v_add_f16_e32 v100, v149, v100
	v_fma_f16 v149, v93, s3, v161
	v_fma_f16 v148, v85, s23, v147
	v_add_f16_e32 v32, v33, v32
	v_add_f16_e32 v100, v149, v100
	v_fma_f16 v149, v94, s16, v162
	v_add_f16_e32 v140, v148, v140
	v_mul_f16_e32 v148, 0xbbf7, v117
	v_add_f16_e32 v32, v34, v32
	v_add_f16_e32 v100, v149, v100
	v_fma_f16 v149, v86, s16, v148
	v_mul_f16_e32 v150, 0xb1e1, v119
	v_add_f16_e32 v32, v35, v32
	v_add_f16_e32 v149, v63, v149
	v_fma_f16 v151, v87, s18, v150
	v_add_f16_e32 v32, v36, v32
	v_add_f16_e32 v149, v151, v149
	v_mul_f16_e32 v151, 0x3bb2, v121
	v_add_f16_e32 v32, v37, v32
	v_fma_f16 v152, v88, s3, v151
	v_add_f16_e32 v32, v38, v32
	v_add_f16_e32 v149, v152, v149
	v_mul_f16_e32 v152, 0x35c8, v123
	;; [unrolled: 5-line block ×5, first 2 shown]
	v_add_f16_e32 v18, v19, v18
	v_fma_f16 v156, v93, s2, v155
	v_add_f16_e32 v18, v20, v18
	v_fma_f16 v20, v77, s26, v105
	s_movk_i32 s29, 0x3964
	v_add_f16_e32 v149, v156, v149
	v_mul_f16_e32 v156, 0x3964, v131
	v_add_f16_e32 v18, v21, v18
	v_add_f16_e32 v20, v64, v20
	v_fma_f16 v21, v78, s33, v109
	s_mov_b32 s31, 0xbb29
	v_fma_f16 v157, v94, s19, v156
	v_add_f16_e32 v20, v21, v20
	v_fma_f16 v21, v80, s29, v111
	s_mov_b32 s20, 0xb1e1
	v_add_f16_e32 v149, v157, v149
	v_mul_f16_e32 v157, 0x3722, v102
	v_add_f16_e32 v20, v21, v20
	v_fma_f16 v21, v81, s31, v113
	v_fma_f16 v158, v77, s24, v157
	v_mul_f16_e32 v159, 0xb8d2, v104
	v_add_f16_e32 v20, v21, v20
	v_fma_f16 v21, v82, s20, v115
	v_add_f16_e32 v158, v64, v158
	v_fma_f16 v160, v78, s30, v159
	;; [unrolled: 2-line block ×3, first 2 shown]
	v_add_f16_e32 v158, v160, v158
	v_mul_f16_e32 v160, 0xbbdd, v106
	v_add_f16_e32 v20, v21, v20
	v_fma_f16 v21, v84, s17, v120
	v_fma_f16 v161, v80, s20, v160
	v_add_f16_e32 v20, v21, v20
	v_fma_f16 v21, v85, s4, v122
	v_add_f16_e32 v158, v161, v158
	v_mul_f16_e32 v161, 0xb461, v108
	v_add_f16_e32 v20, v21, v20
	v_fma_f16 v21, v86, s3, -v124
	v_fma_f16 v163, v94, s16, -v162
	v_fma_f16 v162, v81, s26, v161
	v_add_f16_e32 v21, v63, v21
	v_fma_f16 v22, v87, s5, -v128
	v_add_f16_e32 v158, v162, v158
	v_mul_f16_e32 v162, 0x39e9, v110
	v_add_f16_e32 v21, v22, v21
	v_fma_f16 v22, v88, s19, -v130
	v_add_f16_e32 v98, v163, v98
	v_fma_f16 v163, v82, s23, v162
	v_add_f16_e32 v21, v22, v21
	v_fma_f16 v22, v90, s22, -v132
	v_add_f16_e32 v158, v163, v158
	v_mul_f16_e32 v163, 0x3b76, v112
	v_add_f16_e32 v21, v22, v21
	v_fma_f16 v22, v91, s18, -v135
	v_fma_f16 v164, v83, s28, v163
	v_add_f16_e32 v21, v22, v21
	v_fma_f16 v22, v92, s16, -v136
	v_add_f16_e32 v158, v164, v158
	v_mul_f16_e32 v164, 0x2de8, v114
	v_add_f16_e32 v21, v22, v21
	v_fma_f16 v22, v93, s14, -v137
	v_fma_f16 v165, v84, s27, v164
	v_add_f16_e32 v21, v22, v21
	v_fma_f16 v22, v94, s2, -v138
	v_add_f16_e32 v158, v165, v158
	v_mul_f16_e32 v165, 0xbacd, v116
	v_add_f16_e32 v21, v22, v21
	v_fma_f16 v22, v77, s25, v139
	v_fma_f16 v166, v85, s33, v165
	v_add_f16_e32 v22, v64, v22
	v_fma_f16 v23, v78, s20, v141
	v_add_f16_e32 v158, v166, v158
	v_mul_f16_e32 v166, 0xbb29, v117
	v_add_f16_e32 v22, v23, v22
	v_fma_f16 v23, v80, s21, v142
	v_fma_f16 v167, v86, s22, v166
	v_mul_f16_e32 v168, 0xba62, v119
	v_add_f16_e32 v22, v23, v22
	v_fma_f16 v23, v81, s28, v143
	v_add_f16_e32 v167, v63, v167
	v_fma_f16 v169, v87, s2, v168
	;; [unrolled: 2-line block ×3, first 2 shown]
	v_add_f16_e32 v167, v169, v167
	v_mul_f16_e32 v169, 0x31e1, v121
	v_add_f16_e32 v22, v23, v22
	v_fma_f16 v23, v83, s15, v145
	v_fma_f16 v170, v88, s18, v169
	v_add_f16_e32 v22, v23, v22
	v_fma_f16 v23, v84, s30, v146
	v_add_f16_e32 v167, v170, v167
	v_mul_f16_e32 v170, 0x3bb2, v123
	v_add_f16_e32 v22, v23, v22
	v_fma_f16 v23, v85, s29, v147
	v_fma_f16 v171, v90, s3, v170
	v_add_f16_e32 v22, v23, v22
	v_fma_f16 v23, v86, s16, -v148
	v_add_f16_e32 v167, v171, v167
	v_mul_f16_e32 v171, 0x3964, v125
	v_add_f16_e32 v23, v63, v23
	v_fma_f16 v32, v87, s18, -v150
	v_fma_f16 v172, v91, s19, v171
	v_add_f16_e32 v23, v32, v23
	v_fma_f16 v32, v88, s3, -v151
	v_add_f16_e32 v167, v172, v167
	v_mul_f16_e32 v172, 0xb5c8, v127
	v_add_f16_e32 v23, v32, v23
	v_fma_f16 v32, v90, s14, -v152
	;; [unrolled: 7-line block ×4, first 2 shown]
	v_fma_f16 v175, v94, s5, v174
	v_add_f16_e32 v23, v32, v23
	v_fma_f16 v32, v77, s31, v157
	v_add_f16_e32 v167, v175, v167
	v_mul_f16_e32 v175, 0x39e9, v102
	v_add_f16_e32 v32, v64, v32
	v_fma_f16 v33, v78, s4, v159
	v_fma_f16 v176, v77, s29, v175
	v_mul_f16_e32 v177, 0x2de8, v104
	v_add_f16_e32 v32, v33, v32
	v_fma_f16 v33, v80, s34, v160
	v_add_f16_e32 v176, v64, v176
	v_fma_f16 v178, v78, s27, v177
	;; [unrolled: 2-line block ×3, first 2 shown]
	v_add_f16_e32 v176, v178, v176
	v_mul_f16_e32 v178, 0xb8d2, v106
	v_add_f16_e32 v32, v33, v32
	v_fma_f16 v33, v82, s29, v162
	v_fma_f16 v179, v80, s30, v178
	v_add_f16_e32 v32, v33, v32
	v_fma_f16 v33, v83, s17, v163
	v_add_f16_e32 v176, v179, v176
	v_mul_f16_e32 v179, 0xbbdd, v108
	v_add_f16_e32 v32, v33, v32
	v_fma_f16 v33, v84, s25, v164
	v_fma_f16 v180, v81, s34, v179
	v_add_f16_e32 v32, v33, v32
	v_fma_f16 v33, v85, s15, v165
	v_add_f16_e32 v176, v180, v176
	v_mul_f16_e32 v180, 0xbacd, v110
	v_add_f16_e32 v32, v33, v32
	v_fma_f16 v33, v86, s22, -v166
	v_fma_f16 v181, v82, s15, v180
	v_add_f16_e32 v33, v63, v33
	v_fma_f16 v34, v87, s2, -v168
	v_add_f16_e32 v176, v181, v176
	v_mul_f16_e32 v181, 0xb461, v112
	v_add_f16_e32 v33, v34, v33
	v_fma_f16 v34, v88, s18, -v169
	v_fma_f16 v182, v83, s26, v181
	v_add_f16_e32 v33, v34, v33
	v_fma_f16 v34, v90, s3, -v170
	;; [unrolled: 7-line block ×4, first 2 shown]
	v_add_f16_e32 v176, v184, v176
	v_mul_f16_e32 v184, 0xb964, v117
	v_add_f16_e32 v33, v34, v33
	v_fma_f16 v34, v77, s23, v175
	v_fma_f16 v185, v86, s19, v184
	v_mul_f16_e32 v186, 0xbbf7, v119
	v_add_f16_e32 v34, v64, v34
	v_fma_f16 v35, v78, s25, v177
	v_add_f16_e32 v185, v63, v185
	v_fma_f16 v187, v87, s16, v186
	v_add_f16_e32 v34, v35, v34
	v_fma_f16 v35, v80, s4, v178
	v_add_f16_e32 v185, v187, v185
	v_mul_f16_e32 v187, 0xba62, v121
	v_add_f16_e32 v34, v35, v34
	v_fma_f16 v35, v81, s20, v179
	v_fma_f16 v188, v88, s2, v187
	v_add_f16_e32 v34, v35, v34
	v_fma_f16 v35, v82, s33, v180
	v_add_f16_e32 v185, v188, v185
	v_mul_f16_e32 v188, 0xb1e1, v123
	v_add_f16_e32 v34, v35, v34
	v_fma_f16 v35, v83, s21, v181
	v_fma_f16 v189, v90, s18, v188
	v_add_f16_e32 v34, v35, v34
	v_fma_f16 v35, v84, s24, v182
	v_add_f16_e32 v185, v189, v185
	v_mul_f16_e32 v189, 0x3836, v125
	v_add_f16_e32 v34, v35, v34
	v_fma_f16 v35, v85, s28, v183
	v_fma_f16 v190, v91, s5, v189
	v_add_f16_e32 v34, v35, v34
	v_fma_f16 v35, v86, s19, -v184
	v_add_f16_e32 v185, v190, v185
	v_mul_f16_e32 v190, 0x3bb2, v127
	v_add_f16_e32 v35, v63, v35
	v_fma_f16 v36, v87, s16, -v186
	v_fma_f16 v191, v92, s3, v190
	v_add_f16_e32 v35, v36, v35
	v_fma_f16 v36, v88, s2, -v187
	v_add_f16_e32 v185, v191, v185
	v_mul_f16_e32 v191, 0x3b29, v129
	v_add_f16_e32 v35, v36, v35
	v_fma_f16 v36, v90, s18, -v188
	;; [unrolled: 7-line block ×3, first 2 shown]
	v_fma_f16 v193, v94, s14, v192
	v_mul_f16_e32 v102, 0x3b76, v102
	v_add_f16_e32 v35, v36, v35
	v_fma_f16 v36, v93, s22, -v191
	v_add_f16_e32 v185, v193, v185
	v_fma_f16 v193, v77, s28, v102
	v_mul_f16_e32 v104, 0x39e9, v104
	v_add_f16_e32 v35, v36, v35
	v_fma_f16 v36, v94, s14, -v192
	v_add_f16_e32 v193, v64, v193
	v_fma_f16 v194, v78, s29, v104
	v_mul_f16_e32 v106, 0x3722, v106
	v_add_f16_e32 v19, v66, v64
	v_add_f16_e32 v35, v36, v35
	v_fma_f16 v36, v77, s17, v102
	v_add_f16_e32 v193, v194, v193
	v_fma_f16 v194, v80, s24, v106
	v_mul_f16_e32 v108, 0x2de8, v108
	v_add_f16_e32 v19, v67, v19
	v_add_f16_e32 v36, v64, v36
	v_fma_f16 v37, v78, s23, v104
	;; [unrolled: 6-line block ×8, first 2 shown]
	v_add_f16_e32 v194, v63, v194
	v_fma_f16 v195, v87, s19, v119
	v_mul_f16_e32 v121, 0xbb29, v121
	v_add_f16_e32 v19, v74, v19
	v_add_f16_e32 v36, v37, v36
	v_fma_f16 v37, v86, s14, -v117
	v_add_f16_e32 v194, v195, v194
	v_fma_f16 v195, v88, s22, v121
	v_mul_f16_e32 v123, 0xbbf7, v123
	v_add_f16_e32 v19, v75, v19
	v_add_f16_e32 v37, v63, v37
	v_fma_f16 v38, v87, s19, -v119
	;; [unrolled: 6-line block ×6, first 2 shown]
	v_add_f16_e32 v194, v195, v194
	v_fma_f16 v195, v94, s18, v131
	v_add_f16_e32 v19, v47, v19
	v_add_f16_e32 v37, v38, v37
	v_fma_f16 v38, v93, s5, -v129
	v_add_f16_e32 v194, v195, v194
	v_add_f16_e32 v19, v51, v19
	;; [unrolled: 1-line block ×3, first 2 shown]
	v_fma_f16 v38, v94, s18, -v131
	v_add_f16_e32 v37, v38, v37
	v_lshl_add_u32 v38, v46, 2, v45
	v_pack_b32_f16 v39, v194, v193
	v_pack_b32_f16 v18, v18, v19
	ds_write2_b32 v38, v18, v39 offset1:1
	v_pack_b32_f16 v18, v167, v158
	v_pack_b32_f16 v19, v185, v176
	ds_write2_b32 v38, v19, v18 offset0:2 offset1:3
	v_pack_b32_f16 v18, v126, v107
	v_pack_b32_f16 v19, v149, v140
	ds_write2_b32 v38, v19, v18 offset0:4 offset1:5
	;; [unrolled: 3-line block ×7, first 2 shown]
	v_pack_b32_f16 v18, v37, v36
	ds_write_b32 v38, v18 offset:64
.LBB0_13:
	s_or_b64 exec, exec, s[0:1]
	v_add_u32_e32 v38, 0x400, v52
	s_waitcnt lgkmcnt(0)
	s_barrier
	ds_read2_b32 v[20:21], v38 offset0:152 offset1:254
	v_add_u32_e32 v39, 0xc00, v52
	ds_read2_b32 v[22:23], v39 offset0:48 offset1:150
	v_add_u32_e32 v48, 0x800, v52
	ds_read2_b32 v[34:35], v48 offset0:100 offset1:202
	s_waitcnt lgkmcnt(2)
	v_lshrrev_b32_e32 v41, 16, v20
	v_mul_f16_sdwa v70, v26, v41 dst_sel:DWORD dst_unused:UNUSED_PAD src0_sel:WORD_1 src1_sel:DWORD
	s_waitcnt lgkmcnt(1)
	v_lshrrev_b32_e32 v45, 16, v22
	v_fma_f16 v70, v26, v20, v70
	v_mul_f16_sdwa v20, v26, v20 dst_sel:DWORD dst_unused:UNUSED_PAD src0_sel:WORD_1 src1_sel:DWORD
	v_fma_f16 v20, v26, v41, -v20
	v_mul_f16_sdwa v26, v27, v45 dst_sel:DWORD dst_unused:UNUSED_PAD src0_sel:WORD_1 src1_sel:DWORD
	v_add_u32_e32 v49, 0xe00, v52
	v_lshrrev_b32_e32 v50, 16, v21
	v_fma_f16 v26, v27, v22, v26
	v_mul_f16_sdwa v22, v27, v22 dst_sel:DWORD dst_unused:UNUSED_PAD src0_sel:WORD_1 src1_sel:DWORD
	ds_read2_b32 v[36:37], v49 offset0:124 offset1:226
	v_fma_f16 v22, v27, v45, -v22
	v_mul_f16_sdwa v27, v24, v50 dst_sel:DWORD dst_unused:UNUSED_PAD src0_sel:WORD_1 src1_sel:DWORD
	v_lshrrev_b32_e32 v51, 16, v23
	v_fma_f16 v27, v24, v21, v27
	v_mul_f16_sdwa v21, v24, v21 dst_sel:DWORD dst_unused:UNUSED_PAD src0_sel:WORD_1 src1_sel:DWORD
	v_fma_f16 v21, v24, v50, -v21
	v_mul_f16_sdwa v24, v25, v51 dst_sel:DWORD dst_unused:UNUSED_PAD src0_sel:WORD_1 src1_sel:DWORD
	s_waitcnt lgkmcnt(1)
	v_lshrrev_b32_e32 v64, 16, v34
	v_fma_f16 v24, v25, v23, v24
	v_mul_f16_sdwa v23, v25, v23 dst_sel:DWORD dst_unused:UNUSED_PAD src0_sel:WORD_1 src1_sel:DWORD
	v_fma_f16 v23, v25, v51, -v23
	v_mul_f16_sdwa v25, v30, v64 dst_sel:DWORD dst_unused:UNUSED_PAD src0_sel:WORD_1 src1_sel:DWORD
	s_waitcnt lgkmcnt(0)
	v_lshrrev_b32_e32 v66, 16, v36
	v_fma_f16 v25, v30, v34, v25
	v_mul_f16_sdwa v34, v30, v34 dst_sel:DWORD dst_unused:UNUSED_PAD src0_sel:WORD_1 src1_sel:DWORD
	v_fma_f16 v30, v30, v64, -v34
	v_mul_f16_sdwa v34, v31, v66 dst_sel:DWORD dst_unused:UNUSED_PAD src0_sel:WORD_1 src1_sel:DWORD
	ds_read2_b32 v[18:19], v52 offset1:102
	v_lshrrev_b32_e32 v68, 16, v35
	v_fma_f16 v34, v31, v36, v34
	v_mul_f16_sdwa v36, v31, v36 dst_sel:DWORD dst_unused:UNUSED_PAD src0_sel:WORD_1 src1_sel:DWORD
	v_fma_f16 v31, v31, v66, -v36
	v_mul_f16_sdwa v36, v28, v68 dst_sel:DWORD dst_unused:UNUSED_PAD src0_sel:WORD_1 src1_sel:DWORD
	v_lshrrev_b32_e32 v69, 16, v37
	v_fma_f16 v36, v28, v35, v36
	v_mul_f16_sdwa v35, v28, v35 dst_sel:DWORD dst_unused:UNUSED_PAD src0_sel:WORD_1 src1_sel:DWORD
	v_fma_f16 v28, v28, v68, -v35
	v_mul_f16_sdwa v35, v29, v69 dst_sel:DWORD dst_unused:UNUSED_PAD src0_sel:WORD_1 src1_sel:DWORD
	v_fma_f16 v35, v29, v37, v35
	v_mul_f16_sdwa v37, v29, v37 dst_sel:DWORD dst_unused:UNUSED_PAD src0_sel:WORD_1 src1_sel:DWORD
	v_add_f16_e32 v41, v70, v26
	s_waitcnt lgkmcnt(0)
	v_lshrrev_b32_e32 v40, 16, v18
	v_add_u32_e32 v47, 0x200, v52
	v_fma_f16 v29, v29, v69, -v37
	v_add_f16_e32 v37, v18, v70
	v_fma_f16 v18, v41, -0.5, v18
	v_sub_f16_e32 v41, v20, v22
	s_mov_b32 s1, 0xbaee
	s_movk_i32 s0, 0x3aee
	ds_read2_b32 v[32:33], v47 offset0:76 offset1:178
	v_fma_f16 v45, v41, s1, v18
	v_fma_f16 v18, v41, s0, v18
	v_add_f16_e32 v41, v40, v20
	v_add_f16_e32 v20, v20, v22
	;; [unrolled: 1-line block ×3, first 2 shown]
	v_fma_f16 v20, v20, -0.5, v40
	v_sub_f16_e32 v22, v70, v26
	v_add_f16_e32 v40, v27, v24
	v_lshrrev_b32_e32 v46, 16, v19
	v_add_f16_e32 v37, v37, v26
	v_fma_f16 v26, v22, s0, v20
	v_fma_f16 v20, v22, s1, v20
	v_add_f16_e32 v22, v19, v27
	v_fma_f16 v19, v40, -0.5, v19
	v_sub_f16_e32 v40, v21, v23
	v_fma_f16 v50, v40, s1, v19
	v_fma_f16 v19, v40, s0, v19
	v_add_f16_e32 v40, v46, v21
	v_add_f16_e32 v21, v21, v23
	;; [unrolled: 1-line block ×3, first 2 shown]
	v_fma_f16 v21, v21, -0.5, v46
	v_sub_f16_e32 v23, v27, v24
	v_add_f16_e32 v27, v25, v34
	s_waitcnt lgkmcnt(0)
	v_lshrrev_b32_e32 v63, 16, v32
	v_add_f16_e32 v22, v22, v24
	v_fma_f16 v24, v23, s0, v21
	v_fma_f16 v21, v23, s1, v21
	v_add_f16_e32 v23, v32, v25
	v_fma_f16 v27, v27, -0.5, v32
	v_sub_f16_e32 v32, v30, v31
	v_fma_f16 v46, v32, s1, v27
	v_fma_f16 v27, v32, s0, v27
	v_add_f16_e32 v32, v63, v30
	v_add_f16_e32 v30, v30, v31
	;; [unrolled: 1-line block ×3, first 2 shown]
	v_fma_f16 v30, v30, -0.5, v63
	v_sub_f16_e32 v25, v25, v34
	v_add_f16_e32 v34, v36, v35
	v_lshrrev_b32_e32 v67, 16, v33
	v_add_f16_e32 v32, v32, v31
	v_fma_f16 v31, v25, s0, v30
	v_fma_f16 v25, v25, s1, v30
	v_add_f16_e32 v30, v33, v36
	v_fma_f16 v33, v34, -0.5, v33
	v_sub_f16_e32 v34, v28, v29
	v_fma_f16 v51, v34, s1, v33
	v_fma_f16 v33, v34, s0, v33
	v_add_f16_e32 v34, v67, v28
	v_add_f16_e32 v28, v28, v29
	;; [unrolled: 1-line block ×3, first 2 shown]
	v_fma_f16 v28, v28, -0.5, v67
	v_sub_f16_e32 v29, v36, v35
	v_pack_b32_f16 v18, v18, v20
	v_add_f16_e32 v30, v30, v35
	v_fma_f16 v35, v29, s0, v28
	v_fma_f16 v28, v29, s1, v28
	s_barrier
	v_pack_b32_f16 v29, v37, v41
	v_pack_b32_f16 v26, v45, v26
	ds_write_b32 v53, v18 offset:136
	v_pack_b32_f16 v18, v22, v40
	v_pack_b32_f16 v20, v50, v24
	ds_write2_b32 v53, v29, v26 offset1:17
	ds_write2_b32 v54, v18, v20 offset1:17
	v_pack_b32_f16 v18, v19, v21
	ds_write_b32 v54, v18 offset:136
	v_pack_b32_f16 v18, v23, v32
	v_pack_b32_f16 v19, v46, v31
	ds_write2_b32 v55, v18, v19 offset1:17
	v_pack_b32_f16 v18, v27, v25
	ds_write_b32 v55, v18 offset:136
	v_pack_b32_f16 v18, v30, v34
	v_pack_b32_f16 v19, v51, v35
	ds_write2_b32 v56, v18, v19 offset1:17
	v_pack_b32_f16 v18, v33, v28
	ds_write_b32 v56, v18 offset:136
	s_waitcnt lgkmcnt(0)
	s_barrier
	ds_read2_b32 v[18:19], v52 offset1:102
	ds_read2_b32 v[20:21], v47 offset0:76 offset1:178
	ds_read2_b32 v[22:23], v48 offset0:100 offset1:202
	;; [unrolled: 1-line block ×5, first 2 shown]
	s_waitcnt lgkmcnt(4)
	v_lshrrev_b32_e32 v31, 16, v21
	v_mul_f16_sdwa v50, v8, v31 dst_sel:DWORD dst_unused:UNUSED_PAD src0_sel:WORD_1 src1_sel:DWORD
	s_waitcnt lgkmcnt(3)
	v_lshrrev_b32_e32 v32, 16, v22
	v_fma_f16 v50, v8, v21, v50
	v_mul_f16_sdwa v21, v8, v21 dst_sel:DWORD dst_unused:UNUSED_PAD src0_sel:WORD_1 src1_sel:DWORD
	v_fma_f16 v8, v8, v31, -v21
	v_mul_f16_sdwa v21, v9, v32 dst_sel:DWORD dst_unused:UNUSED_PAD src0_sel:WORD_1 src1_sel:DWORD
	s_waitcnt lgkmcnt(2)
	v_lshrrev_b32_e32 v33, 16, v25
	v_fma_f16 v21, v9, v22, v21
	v_mul_f16_sdwa v22, v9, v22 dst_sel:DWORD dst_unused:UNUSED_PAD src0_sel:WORD_1 src1_sel:DWORD
	v_fma_f16 v9, v9, v32, -v22
	;; [unrolled: 6-line block ×3, first 2 shown]
	v_mul_f16_sdwa v25, v11, v35 dst_sel:DWORD dst_unused:UNUSED_PAD src0_sel:WORD_1 src1_sel:DWORD
	v_lshrrev_b32_e32 v36, 16, v23
	v_fma_f16 v25, v11, v26, v25
	v_mul_f16_sdwa v26, v11, v26 dst_sel:DWORD dst_unused:UNUSED_PAD src0_sel:WORD_1 src1_sel:DWORD
	v_fma_f16 v11, v11, v35, -v26
	v_mul_f16_sdwa v26, v12, v36 dst_sel:DWORD dst_unused:UNUSED_PAD src0_sel:WORD_1 src1_sel:DWORD
	s_waitcnt lgkmcnt(0)
	v_lshrrev_b32_e32 v37, 16, v28
	v_fma_f16 v26, v12, v23, v26
	v_mul_f16_sdwa v23, v12, v23 dst_sel:DWORD dst_unused:UNUSED_PAD src0_sel:WORD_1 src1_sel:DWORD
	v_fma_f16 v12, v12, v36, -v23
	v_mul_f16_sdwa v23, v13, v37 dst_sel:DWORD dst_unused:UNUSED_PAD src0_sel:WORD_1 src1_sel:DWORD
	v_lshrrev_b32_e32 v41, 16, v27
	v_fma_f16 v23, v13, v28, v23
	v_mul_f16_sdwa v28, v13, v28 dst_sel:DWORD dst_unused:UNUSED_PAD src0_sel:WORD_1 src1_sel:DWORD
	v_fma_f16 v13, v13, v37, -v28
	v_mul_f16_sdwa v28, v14, v41 dst_sel:DWORD dst_unused:UNUSED_PAD src0_sel:WORD_1 src1_sel:DWORD
	;; [unrolled: 5-line block ×3, first 2 shown]
	v_lshrrev_b32_e32 v46, 16, v29
	v_fma_f16 v27, v15, v24, v27
	v_mul_f16_sdwa v24, v15, v24 dst_sel:DWORD dst_unused:UNUSED_PAD src0_sel:WORD_1 src1_sel:DWORD
	v_lshrrev_b32_e32 v30, 16, v18
	v_fma_f16 v15, v15, v45, -v24
	v_mul_f16_sdwa v24, v16, v46 dst_sel:DWORD dst_unused:UNUSED_PAD src0_sel:WORD_1 src1_sel:DWORD
	v_fma_f16 v24, v16, v29, v24
	v_mul_f16_sdwa v29, v16, v29 dst_sel:DWORD dst_unused:UNUSED_PAD src0_sel:WORD_1 src1_sel:DWORD
	v_sub_f16_e32 v21, v18, v21
	v_sub_f16_e32 v9, v30, v9
	;; [unrolled: 1-line block ×4, first 2 shown]
	v_lshrrev_b32_e32 v34, 16, v19
	v_fma_f16 v16, v16, v46, -v29
	v_fma_f16 v18, v18, 2.0, -v21
	v_fma_f16 v29, v30, 2.0, -v9
	;; [unrolled: 1-line block ×4, first 2 shown]
	v_sub_f16_e32 v30, v18, v30
	v_sub_f16_e32 v8, v29, v8
	v_add_f16_e32 v10, v21, v10
	v_sub_f16_e32 v22, v9, v22
	v_sub_f16_e32 v26, v19, v26
	;; [unrolled: 1-line block ×5, first 2 shown]
	v_lshrrev_b32_e32 v40, 16, v20
	v_fma_f16 v18, v18, 2.0, -v30
	v_fma_f16 v29, v29, 2.0, -v8
	;; [unrolled: 1-line block ×8, first 2 shown]
	v_sub_f16_e32 v25, v19, v25
	v_sub_f16_e32 v11, v31, v11
	v_add_f16_e32 v13, v26, v13
	v_sub_f16_e32 v23, v12, v23
	v_sub_f16_e32 v27, v20, v27
	;; [unrolled: 1-line block ×5, first 2 shown]
	v_pack_b32_f16 v18, v18, v29
	v_pack_b32_f16 v9, v21, v9
	v_fma_f16 v19, v19, 2.0, -v25
	v_fma_f16 v31, v31, 2.0, -v11
	;; [unrolled: 1-line block ×8, first 2 shown]
	s_barrier
	ds_write2_b32 v57, v18, v9 offset1:51
	v_pack_b32_f16 v8, v30, v8
	v_pack_b32_f16 v9, v10, v22
	v_sub_f16_e32 v28, v20, v28
	v_sub_f16_e32 v14, v32, v14
	v_add_f16_e32 v16, v27, v16
	v_sub_f16_e32 v24, v15, v24
	ds_write2_b32 v57, v8, v9 offset0:102 offset1:153
	v_pack_b32_f16 v8, v19, v31
	v_pack_b32_f16 v9, v26, v12
	v_fma_f16 v20, v20, 2.0, -v28
	v_fma_f16 v32, v32, 2.0, -v14
	;; [unrolled: 1-line block ×4, first 2 shown]
	ds_write2_b32 v58, v8, v9 offset1:51
	v_pack_b32_f16 v8, v25, v11
	v_pack_b32_f16 v9, v13, v23
	ds_write2_b32 v58, v8, v9 offset0:102 offset1:153
	v_pack_b32_f16 v8, v20, v32
	v_pack_b32_f16 v9, v27, v15
	ds_write2_b32 v59, v8, v9 offset1:51
	v_pack_b32_f16 v8, v28, v14
	v_pack_b32_f16 v9, v16, v24
	ds_write2_b32 v59, v8, v9 offset0:102 offset1:153
	s_waitcnt lgkmcnt(0)
	s_barrier
	ds_read2_b32 v[8:9], v52 offset1:102
	ds_read2_b32 v[10:11], v47 offset0:76 offset1:178
	ds_read2_b32 v[12:13], v38 offset0:152 offset1:254
	;; [unrolled: 1-line block ×5, first 2 shown]
	s_waitcnt lgkmcnt(4)
	v_lshrrev_b32_e32 v22, 16, v10
	v_mul_f16_sdwa v33, v0, v22 dst_sel:DWORD dst_unused:UNUSED_PAD src0_sel:WORD_1 src1_sel:DWORD
	s_waitcnt lgkmcnt(3)
	v_lshrrev_b32_e32 v23, 16, v12
	v_fma_f16 v33, v0, v10, v33
	v_mul_f16_sdwa v10, v0, v10 dst_sel:DWORD dst_unused:UNUSED_PAD src0_sel:WORD_1 src1_sel:DWORD
	v_fma_f16 v0, v0, v22, -v10
	v_mul_f16_sdwa v10, v1, v23 dst_sel:DWORD dst_unused:UNUSED_PAD src0_sel:WORD_1 src1_sel:DWORD
	s_waitcnt lgkmcnt(2)
	v_lshrrev_b32_e32 v24, 16, v14
	v_fma_f16 v10, v1, v12, v10
	v_mul_f16_sdwa v12, v1, v12 dst_sel:DWORD dst_unused:UNUSED_PAD src0_sel:WORD_1 src1_sel:DWORD
	v_fma_f16 v1, v1, v23, -v12
	;; [unrolled: 6-line block ×3, first 2 shown]
	v_mul_f16_sdwa v14, v3, v25 dst_sel:DWORD dst_unused:UNUSED_PAD src0_sel:WORD_1 src1_sel:DWORD
	v_fma_f16 v14, v3, v18, v14
	v_mul_f16_sdwa v18, v3, v18 dst_sel:DWORD dst_unused:UNUSED_PAD src0_sel:WORD_1 src1_sel:DWORD
	s_waitcnt lgkmcnt(0)
	v_lshrrev_b32_e32 v26, 16, v20
	v_fma_f16 v3, v3, v25, -v18
	v_add_f16_e32 v24, v10, v14
	v_lshrrev_b32_e32 v16, 16, v8
	v_lshrrev_b32_e32 v28, 16, v11
	v_mul_f16_sdwa v18, v60, v26 dst_sel:DWORD dst_unused:UNUSED_PAD src0_sel:WORD_1 src1_sel:DWORD
	v_add_f16_e32 v23, v8, v10
	v_fma_f16 v8, v24, -0.5, v8
	v_sub_f16_e32 v24, v1, v3
	v_fma_f16 v18, v60, v20, v18
	v_mul_f16_sdwa v20, v60, v20 dst_sel:DWORD dst_unused:UNUSED_PAD src0_sel:WORD_1 src1_sel:DWORD
	v_mul_f16_sdwa v22, v4, v28 dst_sel:DWORD dst_unused:UNUSED_PAD src0_sel:WORD_1 src1_sel:DWORD
	v_fma_f16 v25, v24, s1, v8
	v_fma_f16 v8, v24, s0, v8
	v_add_f16_e32 v24, v16, v1
	v_lshrrev_b32_e32 v29, 16, v13
	v_fma_f16 v20, v60, v26, -v20
	v_fma_f16 v22, v4, v11, v22
	v_mul_f16_sdwa v11, v4, v11 dst_sel:DWORD dst_unused:UNUSED_PAD src0_sel:WORD_1 src1_sel:DWORD
	v_add_f16_e32 v23, v23, v14
	v_add_f16_e32 v24, v24, v3
	;; [unrolled: 1-line block ×3, first 2 shown]
	v_sub_f16_e32 v3, v10, v14
	v_add_f16_e32 v14, v12, v18
	v_fma_f16 v4, v4, v28, -v11
	v_mul_f16_sdwa v11, v5, v29 dst_sel:DWORD dst_unused:UNUSED_PAD src0_sel:WORD_1 src1_sel:DWORD
	v_fma_f16 v1, v1, -0.5, v16
	v_fma_f16 v14, v14, -0.5, v33
	v_sub_f16_e32 v16, v2, v20
	v_lshrrev_b32_e32 v30, 16, v15
	v_fma_f16 v11, v5, v13, v11
	v_mul_f16_sdwa v13, v5, v13 dst_sel:DWORD dst_unused:UNUSED_PAD src0_sel:WORD_1 src1_sel:DWORD
	v_fma_f16 v26, v16, s1, v14
	v_fma_f16 v14, v16, s0, v14
	v_add_f16_e32 v16, v0, v2
	v_add_f16_e32 v2, v2, v20
	v_fma_f16 v5, v5, v29, -v13
	v_mul_f16_sdwa v13, v6, v30 dst_sel:DWORD dst_unused:UNUSED_PAD src0_sel:WORD_1 src1_sel:DWORD
	v_fma_f16 v0, v2, -0.5, v0
	v_sub_f16_e32 v2, v12, v18
	v_lshrrev_b32_e32 v31, 16, v19
	v_fma_f16 v13, v6, v15, v13
	v_mul_f16_sdwa v15, v6, v15 dst_sel:DWORD dst_unused:UNUSED_PAD src0_sel:WORD_1 src1_sel:DWORD
	v_fma_f16 v10, v3, s0, v1
	v_fma_f16 v1, v3, s1, v1
	v_add_f16_e32 v3, v33, v12
	v_fma_f16 v12, v2, s0, v0
	v_fma_f16 v6, v6, v30, -v15
	v_mul_f16_sdwa v15, v7, v31 dst_sel:DWORD dst_unused:UNUSED_PAD src0_sel:WORD_1 src1_sel:DWORD
	v_add_f16_e32 v3, v3, v18
	v_fma_f16 v0, v2, s1, v0
	v_mul_f16_e32 v18, 0xbaee, v12
	v_mul_f16_e32 v12, 0.5, v12
	v_fma_f16 v15, v7, v19, v15
	v_mul_f16_sdwa v19, v7, v19 dst_sel:DWORD dst_unused:UNUSED_PAD src0_sel:WORD_1 src1_sel:DWORD
	v_mul_f16_e32 v28, 0xbaee, v0
	v_fma_f16 v12, v26, s0, v12
	v_mul_f16_e32 v0, -0.5, v0
	v_lshrrev_b32_e32 v32, 16, v21
	v_fma_f16 v7, v7, v31, -v19
	v_fma_f16 v18, v26, 0.5, v18
	v_add_f16_e32 v26, v10, v12
	v_fma_f16 v0, v14, s0, v0
	v_sub_f16_e32 v10, v10, v12
	v_add_f16_e32 v12, v11, v15
	v_lshrrev_b32_e32 v27, 16, v9
	v_mul_f16_sdwa v19, v61, v32 dst_sel:DWORD dst_unused:UNUSED_PAD src0_sel:WORD_1 src1_sel:DWORD
	v_fma_f16 v28, v14, -0.5, v28
	v_add_f16_e32 v14, v1, v0
	v_sub_f16_e32 v0, v1, v0
	v_add_f16_e32 v1, v9, v11
	v_fma_f16 v9, v12, -0.5, v9
	v_sub_f16_e32 v12, v5, v7
	v_fma_f16 v19, v61, v21, v19
	v_mul_f16_sdwa v21, v61, v21 dst_sel:DWORD dst_unused:UNUSED_PAD src0_sel:WORD_1 src1_sel:DWORD
	v_add_f16_e32 v2, v23, v3
	v_sub_f16_e32 v3, v23, v3
	v_fma_f16 v23, v12, s1, v9
	v_fma_f16 v9, v12, s0, v9
	v_add_f16_e32 v12, v27, v5
	v_add_f16_e32 v5, v5, v7
	v_fma_f16 v21, v61, v32, -v21
	v_add_f16_e32 v1, v1, v15
	v_add_f16_e32 v12, v12, v7
	v_fma_f16 v5, v5, -0.5, v27
	v_sub_f16_e32 v7, v11, v15
	v_add_f16_e32 v15, v13, v19
	v_add_f16_e32 v16, v16, v20
	v_fma_f16 v11, v7, s0, v5
	v_fma_f16 v5, v7, s1, v5
	v_add_f16_e32 v7, v22, v13
	v_fma_f16 v15, v15, -0.5, v22
	v_sub_f16_e32 v22, v6, v21
	v_add_f16_e32 v30, v24, v16
	v_sub_f16_e32 v16, v24, v16
	v_fma_f16 v24, v22, s1, v15
	v_fma_f16 v15, v22, s0, v15
	v_add_f16_e32 v22, v4, v6
	v_add_f16_e32 v6, v6, v21
	v_fma_f16 v4, v6, -0.5, v4
	v_sub_f16_e32 v6, v13, v19
	v_fma_f16 v13, v6, s0, v4
	v_fma_f16 v4, v6, s1, v4
	v_add_f16_e32 v20, v25, v18
	v_sub_f16_e32 v18, v25, v18
	v_add_f16_e32 v7, v7, v19
	v_mul_f16_e32 v19, 0xbaee, v13
	v_mul_f16_e32 v25, 0xbaee, v4
	v_mul_f16_e32 v13, 0.5, v13
	v_mul_f16_e32 v4, -0.5, v4
	v_add_f16_e32 v29, v8, v28
	v_fma_f16 v13, v24, s0, v13
	v_fma_f16 v4, v15, s0, v4
	v_sub_f16_e32 v8, v8, v28
	v_add_f16_e32 v22, v22, v21
	v_fma_f16 v19, v24, 0.5, v19
	v_fma_f16 v25, v15, -0.5, v25
	v_add_f16_e32 v24, v11, v13
	v_add_f16_e32 v15, v5, v4
	v_sub_f16_e32 v11, v11, v13
	v_sub_f16_e32 v5, v5, v4
	v_pack_b32_f16 v2, v2, v30
	v_pack_b32_f16 v13, v29, v14
	v_pack_b32_f16 v3, v3, v16
	v_add_u32_e32 v4, 0x600, v44
	v_add_f16_e32 v6, v1, v7
	v_add_f16_e32 v28, v12, v22
	ds_write_b32 v62, v2
	ds_write2_b32 v4, v13, v3 offset0:24 offset1:228
	v_pack_b32_f16 v10, v18, v10
	v_pack_b32_f16 v0, v8, v0
	v_add_u32_e32 v3, 0xc00, v44
	v_add_f16_e32 v21, v23, v19
	v_add_f16_e32 v27, v9, v25
	v_pack_b32_f16 v2, v20, v26
	ds_write2_b32 v3, v10, v0 offset0:48 offset1:252
	v_pack_b32_f16 v0, v6, v28
	v_sub_f16_e32 v1, v1, v7
	v_sub_f16_e32 v7, v23, v19
	;; [unrolled: 1-line block ×3, first 2 shown]
	ds_write2_b32 v44, v0, v2 offset0:102 offset1:204
	v_pack_b32_f16 v0, v21, v24
	v_pack_b32_f16 v2, v27, v15
	v_add_u32_e32 v6, 0x300, v65
	v_sub_f16_e32 v9, v9, v25
	ds_write2_b32 v6, v0, v2 offset0:12 offset1:216
	v_pack_b32_f16 v0, v1, v12
	v_pack_b32_f16 v1, v7, v11
	v_add_u32_e32 v2, 0x900, v65
	ds_write2_b32 v2, v0, v1 offset0:36 offset1:240
	v_pack_b32_f16 v0, v9, v5
	ds_write_b32 v65, v0 offset:4080
	s_waitcnt lgkmcnt(0)
	s_barrier
	s_and_b64 exec, exec, vcc
	s_cbranch_execz .LBB0_15
; %bb.14:
	global_load_dword v10, v43, s[6:7]
	v_mad_u64_u32 v[1:2], s[0:1], s10, v17, 0
	v_mad_u64_u32 v[5:6], s[0:1], s8, v42, 0
	;; [unrolled: 1-line block ×3, first 2 shown]
	ds_read_b32 v11, v62
	s_mov_b32 s14, 0x1ac5701b
	v_mad_u64_u32 v[8:9], s[0:1], s9, v42, v[6:7]
	v_mov_b32_e32 v2, v7
	s_waitcnt lgkmcnt(0)
	v_lshrrev_b32_e32 v9, 16, v11
	v_mov_b32_e32 v6, v8
	s_mov_b32 s15, 0x3f4ac570
	v_lshlrev_b64 v[1:2], 2, v[1:2]
	v_mov_b32_e32 v12, s13
	v_lshlrev_b64 v[5:6], 2, v[5:6]
	v_add_co_u32_e32 v1, vcc, s12, v1
	v_addc_co_u32_e32 v2, vcc, v12, v2, vcc
	s_movk_i32 s16, 0x1ff
	v_add_co_u32_e32 v5, vcc, v1, v5
	v_addc_co_u32_e32 v6, vcc, v2, v6, vcc
	s_movk_i32 s10, 0xffe
	v_mov_b32_e32 v0, 0x7c00
	s_movk_i32 s18, 0x40f
	s_mov_b32 s17, 0x8000
	s_mul_hi_u32 s12, s8, 0x120
	s_mul_i32 s11, s8, 0x120
	s_waitcnt vmcnt(0)
	v_mul_f16_sdwa v7, v9, v10 dst_sel:DWORD dst_unused:UNUSED_PAD src0_sel:DWORD src1_sel:WORD_1
	v_fma_f16 v7, v11, v10, v7
	v_mul_f16_sdwa v8, v11, v10 dst_sel:DWORD dst_unused:UNUSED_PAD src0_sel:DWORD src1_sel:WORD_1
	v_cvt_f32_f16_e32 v7, v7
	v_fma_f16 v8, v10, v9, -v8
	v_cvt_f32_f16_e32 v9, v8
	v_cvt_f64_f32_e32 v[7:8], v7
	v_cvt_f64_f32_e32 v[9:10], v9
	v_mul_f64 v[7:8], v[7:8], s[14:15]
	v_mul_f64 v[9:10], v[9:10], s[14:15]
	v_and_or_b32 v7, v8, s16, v7
	v_cmp_ne_u32_e32 vcc, 0, v7
	v_and_or_b32 v9, v10, s16, v9
	v_lshrrev_b32_e32 v11, 8, v8
	v_bfe_u32 v12, v8, 20, 11
	v_cndmask_b32_e64 v7, 0, 1, vcc
	v_cmp_ne_u32_e32 vcc, 0, v9
	v_lshrrev_b32_e32 v13, 8, v10
	v_bfe_u32 v14, v10, 20, 11
	v_sub_u32_e32 v15, 0x3f1, v12
	v_cndmask_b32_e64 v9, 0, 1, vcc
	v_and_or_b32 v7, v11, s10, v7
	v_sub_u32_e32 v16, 0x3f1, v14
	v_med3_i32 v11, v15, 0, 13
	v_and_or_b32 v9, v13, s10, v9
	v_or_b32_e32 v15, 0x1000, v7
	v_add_u32_e32 v12, 0xfffffc10, v12
	v_med3_i32 v13, v16, 0, 13
	v_cmp_ne_u32_e32 vcc, 0, v7
	v_or_b32_e32 v17, 0x1000, v9
	v_lshrrev_b32_e32 v19, v11, v15
	v_add_u32_e32 v14, 0xfffffc10, v14
	v_lshl_or_b32 v16, v12, 12, v7
	v_cndmask_b32_e64 v7, 0, 1, vcc
	v_cmp_ne_u32_e32 vcc, 0, v9
	v_lshrrev_b32_e32 v20, v13, v17
	v_lshlrev_b32_e32 v11, v11, v19
	v_lshl_or_b32 v18, v14, 12, v9
	v_cndmask_b32_e64 v9, 0, 1, vcc
	v_lshlrev_b32_e32 v13, v13, v20
	v_cmp_ne_u32_e32 vcc, v11, v15
	v_cndmask_b32_e64 v11, 0, 1, vcc
	v_cmp_ne_u32_e32 vcc, v13, v17
	v_cndmask_b32_e64 v13, 0, 1, vcc
	v_or_b32_e32 v11, v19, v11
	v_cmp_gt_i32_e32 vcc, 1, v12
	v_cndmask_b32_e32 v11, v16, v11, vcc
	v_or_b32_e32 v13, v20, v13
	v_cmp_gt_i32_e32 vcc, 1, v14
	v_and_b32_e32 v15, 7, v11
	v_cndmask_b32_e32 v13, v18, v13, vcc
	v_cmp_lt_i32_e32 vcc, 5, v15
	v_cmp_eq_u32_e64 s[0:1], 3, v15
	v_lshrrev_b32_e32 v11, 2, v11
	v_and_b32_e32 v16, 7, v13
	s_or_b64 vcc, s[0:1], vcc
	v_cmp_lt_i32_e64 s[2:3], 5, v16
	v_cmp_eq_u32_e64 s[4:5], 3, v16
	v_addc_co_u32_e32 v11, vcc, 0, v11, vcc
	v_lshrrev_b32_e32 v13, 2, v13
	s_or_b64 vcc, s[4:5], s[2:3]
	v_addc_co_u32_e32 v13, vcc, 0, v13, vcc
	v_cmp_gt_i32_e32 vcc, 31, v12
	v_cndmask_b32_e32 v11, v0, v11, vcc
	v_cmp_gt_i32_e32 vcc, 31, v14
	v_lshl_or_b32 v7, v7, 9, v0
	v_cndmask_b32_e32 v13, v0, v13, vcc
	v_cmp_eq_u32_e32 vcc, s18, v12
	v_lshrrev_b32_e32 v8, 16, v8
	v_lshl_or_b32 v9, v9, 9, v0
	v_cndmask_b32_e32 v7, v11, v7, vcc
	v_cmp_eq_u32_e32 vcc, s18, v14
	v_lshrrev_b32_e32 v10, 16, v10
	v_cndmask_b32_e32 v9, v13, v9, vcc
	v_and_or_b32 v7, v8, s17, v7
	v_and_or_b32 v8, v10, s17, v9
	v_and_b32_e32 v7, 0xffff, v7
	v_lshl_or_b32 v7, v8, 16, v7
	global_store_dword v[5:6], v7, off
	global_load_dword v9, v43, s[6:7] offset:288
	ds_read2_b32 v[7:8], v44 offset0:72 offset1:144
	s_mul_i32 s0, s9, 0x120
	s_add_i32 s12, s12, s0
	v_add_co_u32_e32 v5, vcc, s11, v5
	s_waitcnt lgkmcnt(0)
	v_lshrrev_b32_e32 v10, 16, v7
	s_waitcnt vmcnt(0)
	v_mul_f16_sdwa v11, v10, v9 dst_sel:DWORD dst_unused:UNUSED_PAD src0_sel:DWORD src1_sel:WORD_1
	v_fma_f16 v11, v7, v9, v11
	v_mul_f16_sdwa v7, v7, v9 dst_sel:DWORD dst_unused:UNUSED_PAD src0_sel:DWORD src1_sel:WORD_1
	v_cvt_f32_f16_e32 v11, v11
	v_fma_f16 v7, v9, v10, -v7
	v_cvt_f32_f16_e32 v7, v7
	v_cvt_f64_f32_e32 v[9:10], v11
	v_cvt_f64_f32_e32 v[11:12], v7
	v_mov_b32_e32 v7, s12
	v_mul_f64 v[9:10], v[9:10], s[14:15]
	v_addc_co_u32_e32 v6, vcc, v6, v7, vcc
	v_mul_f64 v[11:12], v[11:12], s[14:15]
	v_and_or_b32 v7, v10, s16, v9
	v_cmp_ne_u32_e32 vcc, 0, v7
	v_lshrrev_b32_e32 v9, 8, v10
	v_and_or_b32 v11, v12, s16, v11
	v_bfe_u32 v13, v10, 20, 11
	v_cndmask_b32_e64 v7, 0, 1, vcc
	v_cmp_ne_u32_e32 vcc, 0, v11
	v_lshrrev_b32_e32 v14, 8, v12
	v_bfe_u32 v15, v12, 20, 11
	v_sub_u32_e32 v16, 0x3f1, v13
	v_cndmask_b32_e64 v11, 0, 1, vcc
	v_and_or_b32 v7, v9, s10, v7
	v_sub_u32_e32 v17, 0x3f1, v15
	v_med3_i32 v9, v16, 0, 13
	v_and_or_b32 v11, v14, s10, v11
	v_or_b32_e32 v16, 0x1000, v7
	v_add_u32_e32 v13, 0xfffffc10, v13
	v_med3_i32 v14, v17, 0, 13
	v_cmp_ne_u32_e32 vcc, 0, v7
	v_or_b32_e32 v18, 0x1000, v11
	v_lshrrev_b32_e32 v20, v9, v16
	v_add_u32_e32 v15, 0xfffffc10, v15
	v_lshl_or_b32 v17, v13, 12, v7
	v_cndmask_b32_e64 v7, 0, 1, vcc
	v_cmp_ne_u32_e32 vcc, 0, v11
	v_lshrrev_b32_e32 v21, v14, v18
	v_lshlrev_b32_e32 v9, v9, v20
	v_lshl_or_b32 v19, v15, 12, v11
	v_cndmask_b32_e64 v11, 0, 1, vcc
	v_lshlrev_b32_e32 v14, v14, v21
	v_cmp_ne_u32_e32 vcc, v9, v16
	v_cndmask_b32_e64 v9, 0, 1, vcc
	v_cmp_ne_u32_e32 vcc, v14, v18
	v_cndmask_b32_e64 v14, 0, 1, vcc
	v_or_b32_e32 v9, v20, v9
	v_cmp_gt_i32_e32 vcc, 1, v13
	v_cndmask_b32_e32 v9, v17, v9, vcc
	v_or_b32_e32 v14, v21, v14
	v_cmp_gt_i32_e32 vcc, 1, v15
	v_and_b32_e32 v16, 7, v9
	v_cndmask_b32_e32 v14, v19, v14, vcc
	v_cmp_lt_i32_e32 vcc, 5, v16
	v_cmp_eq_u32_e64 s[0:1], 3, v16
	v_lshrrev_b32_e32 v9, 2, v9
	v_and_b32_e32 v17, 7, v14
	s_or_b64 vcc, s[0:1], vcc
	v_cmp_lt_i32_e64 s[2:3], 5, v17
	v_cmp_eq_u32_e64 s[4:5], 3, v17
	v_addc_co_u32_e32 v9, vcc, 0, v9, vcc
	v_lshrrev_b32_e32 v14, 2, v14
	s_or_b64 vcc, s[4:5], s[2:3]
	v_addc_co_u32_e32 v14, vcc, 0, v14, vcc
	v_cmp_gt_i32_e32 vcc, 31, v13
	v_cndmask_b32_e32 v9, v0, v9, vcc
	v_cmp_gt_i32_e32 vcc, 31, v15
	v_lshl_or_b32 v7, v7, 9, v0
	v_cndmask_b32_e32 v14, v0, v14, vcc
	v_cmp_eq_u32_e32 vcc, s18, v13
	v_lshrrev_b32_e32 v10, 16, v10
	v_lshl_or_b32 v11, v11, 9, v0
	v_cndmask_b32_e32 v7, v9, v7, vcc
	v_cmp_eq_u32_e32 vcc, s18, v15
	v_lshrrev_b32_e32 v12, 16, v12
	v_cndmask_b32_e32 v9, v14, v11, vcc
	v_and_or_b32 v7, v10, s17, v7
	v_and_or_b32 v9, v12, s17, v9
	v_and_b32_e32 v7, 0xffff, v7
	v_lshl_or_b32 v7, v9, 16, v7
	global_store_dword v[5:6], v7, off
	global_load_dword v7, v43, s[6:7] offset:576
	v_lshrrev_b32_e32 v9, 16, v8
	v_mov_b32_e32 v11, s12
	v_add_co_u32_e32 v5, vcc, s11, v5
	v_addc_co_u32_e32 v6, vcc, v6, v11, vcc
	s_waitcnt vmcnt(0)
	v_mul_f16_sdwa v10, v9, v7 dst_sel:DWORD dst_unused:UNUSED_PAD src0_sel:DWORD src1_sel:WORD_1
	v_fma_f16 v10, v8, v7, v10
	v_mul_f16_sdwa v8, v8, v7 dst_sel:DWORD dst_unused:UNUSED_PAD src0_sel:DWORD src1_sel:WORD_1
	v_cvt_f32_f16_e32 v10, v10
	v_fma_f16 v7, v7, v9, -v8
	v_cvt_f32_f16_e32 v9, v7
	v_cvt_f64_f32_e32 v[7:8], v10
	v_cvt_f64_f32_e32 v[9:10], v9
	v_mul_f64 v[7:8], v[7:8], s[14:15]
	v_mul_f64 v[9:10], v[9:10], s[14:15]
	v_and_or_b32 v7, v8, s16, v7
	v_cmp_ne_u32_e32 vcc, 0, v7
	v_and_or_b32 v9, v10, s16, v9
	v_lshrrev_b32_e32 v11, 8, v8
	v_bfe_u32 v12, v8, 20, 11
	v_cndmask_b32_e64 v7, 0, 1, vcc
	v_cmp_ne_u32_e32 vcc, 0, v9
	v_lshrrev_b32_e32 v13, 8, v10
	v_bfe_u32 v14, v10, 20, 11
	v_sub_u32_e32 v15, 0x3f1, v12
	v_cndmask_b32_e64 v9, 0, 1, vcc
	v_and_or_b32 v7, v11, s10, v7
	v_sub_u32_e32 v16, 0x3f1, v14
	v_med3_i32 v11, v15, 0, 13
	v_and_or_b32 v9, v13, s10, v9
	v_or_b32_e32 v15, 0x1000, v7
	v_add_u32_e32 v12, 0xfffffc10, v12
	v_med3_i32 v13, v16, 0, 13
	v_cmp_ne_u32_e32 vcc, 0, v7
	v_or_b32_e32 v17, 0x1000, v9
	v_lshrrev_b32_e32 v19, v11, v15
	v_add_u32_e32 v14, 0xfffffc10, v14
	v_lshl_or_b32 v16, v12, 12, v7
	v_cndmask_b32_e64 v7, 0, 1, vcc
	v_cmp_ne_u32_e32 vcc, 0, v9
	v_lshrrev_b32_e32 v20, v13, v17
	v_lshlrev_b32_e32 v11, v11, v19
	v_lshl_or_b32 v18, v14, 12, v9
	v_cndmask_b32_e64 v9, 0, 1, vcc
	v_lshlrev_b32_e32 v13, v13, v20
	v_cmp_ne_u32_e32 vcc, v11, v15
	v_cndmask_b32_e64 v11, 0, 1, vcc
	v_cmp_ne_u32_e32 vcc, v13, v17
	v_cndmask_b32_e64 v13, 0, 1, vcc
	v_or_b32_e32 v11, v19, v11
	v_cmp_gt_i32_e32 vcc, 1, v12
	v_cndmask_b32_e32 v11, v16, v11, vcc
	v_or_b32_e32 v13, v20, v13
	v_cmp_gt_i32_e32 vcc, 1, v14
	v_and_b32_e32 v15, 7, v11
	v_cndmask_b32_e32 v13, v18, v13, vcc
	v_cmp_lt_i32_e32 vcc, 5, v15
	v_cmp_eq_u32_e64 s[0:1], 3, v15
	v_lshrrev_b32_e32 v11, 2, v11
	v_and_b32_e32 v16, 7, v13
	s_or_b64 vcc, s[0:1], vcc
	v_cmp_lt_i32_e64 s[2:3], 5, v16
	v_cmp_eq_u32_e64 s[4:5], 3, v16
	v_addc_co_u32_e32 v11, vcc, 0, v11, vcc
	v_lshrrev_b32_e32 v13, 2, v13
	s_or_b64 vcc, s[4:5], s[2:3]
	v_addc_co_u32_e32 v13, vcc, 0, v13, vcc
	v_cmp_gt_i32_e32 vcc, 31, v12
	v_cndmask_b32_e32 v11, v0, v11, vcc
	v_cmp_gt_i32_e32 vcc, 31, v14
	v_lshl_or_b32 v7, v7, 9, v0
	v_cndmask_b32_e32 v13, v0, v13, vcc
	v_cmp_eq_u32_e32 vcc, s18, v12
	v_lshrrev_b32_e32 v8, 16, v8
	v_lshl_or_b32 v9, v9, 9, v0
	v_cndmask_b32_e32 v7, v11, v7, vcc
	v_cmp_eq_u32_e32 vcc, s18, v14
	v_lshrrev_b32_e32 v10, 16, v10
	v_cndmask_b32_e32 v9, v13, v9, vcc
	v_and_or_b32 v7, v8, s17, v7
	v_and_or_b32 v8, v10, s17, v9
	v_and_b32_e32 v7, 0xffff, v7
	v_lshl_or_b32 v7, v8, 16, v7
	global_store_dword v[5:6], v7, off
	global_load_dword v9, v43, s[6:7] offset:864
	v_add_u32_e32 v7, 0x200, v44
	ds_read2_b32 v[7:8], v7 offset0:88 offset1:160
	v_add_co_u32_e32 v5, vcc, s11, v5
	s_waitcnt lgkmcnt(0)
	v_lshrrev_b32_e32 v10, 16, v7
	s_waitcnt vmcnt(0)
	v_mul_f16_sdwa v11, v10, v9 dst_sel:DWORD dst_unused:UNUSED_PAD src0_sel:DWORD src1_sel:WORD_1
	v_fma_f16 v11, v7, v9, v11
	v_mul_f16_sdwa v7, v7, v9 dst_sel:DWORD dst_unused:UNUSED_PAD src0_sel:DWORD src1_sel:WORD_1
	v_cvt_f32_f16_e32 v11, v11
	v_fma_f16 v7, v9, v10, -v7
	v_cvt_f32_f16_e32 v7, v7
	v_cvt_f64_f32_e32 v[9:10], v11
	v_cvt_f64_f32_e32 v[11:12], v7
	v_mov_b32_e32 v7, s12
	v_mul_f64 v[9:10], v[9:10], s[14:15]
	v_addc_co_u32_e32 v6, vcc, v6, v7, vcc
	v_mul_f64 v[11:12], v[11:12], s[14:15]
	v_and_or_b32 v7, v10, s16, v9
	v_cmp_ne_u32_e32 vcc, 0, v7
	v_lshrrev_b32_e32 v9, 8, v10
	v_and_or_b32 v11, v12, s16, v11
	v_bfe_u32 v13, v10, 20, 11
	v_cndmask_b32_e64 v7, 0, 1, vcc
	v_cmp_ne_u32_e32 vcc, 0, v11
	v_lshrrev_b32_e32 v14, 8, v12
	v_bfe_u32 v15, v12, 20, 11
	v_sub_u32_e32 v16, 0x3f1, v13
	v_cndmask_b32_e64 v11, 0, 1, vcc
	v_and_or_b32 v7, v9, s10, v7
	v_sub_u32_e32 v17, 0x3f1, v15
	v_med3_i32 v9, v16, 0, 13
	v_and_or_b32 v11, v14, s10, v11
	v_or_b32_e32 v16, 0x1000, v7
	v_add_u32_e32 v13, 0xfffffc10, v13
	v_med3_i32 v14, v17, 0, 13
	v_cmp_ne_u32_e32 vcc, 0, v7
	v_or_b32_e32 v18, 0x1000, v11
	v_lshrrev_b32_e32 v20, v9, v16
	v_add_u32_e32 v15, 0xfffffc10, v15
	v_lshl_or_b32 v17, v13, 12, v7
	v_cndmask_b32_e64 v7, 0, 1, vcc
	v_cmp_ne_u32_e32 vcc, 0, v11
	v_lshrrev_b32_e32 v21, v14, v18
	v_lshlrev_b32_e32 v9, v9, v20
	v_lshl_or_b32 v19, v15, 12, v11
	v_cndmask_b32_e64 v11, 0, 1, vcc
	v_lshlrev_b32_e32 v14, v14, v21
	v_cmp_ne_u32_e32 vcc, v9, v16
	v_cndmask_b32_e64 v9, 0, 1, vcc
	v_cmp_ne_u32_e32 vcc, v14, v18
	v_cndmask_b32_e64 v14, 0, 1, vcc
	v_or_b32_e32 v9, v20, v9
	v_cmp_gt_i32_e32 vcc, 1, v13
	v_cndmask_b32_e32 v9, v17, v9, vcc
	v_or_b32_e32 v14, v21, v14
	v_cmp_gt_i32_e32 vcc, 1, v15
	v_and_b32_e32 v16, 7, v9
	v_cndmask_b32_e32 v14, v19, v14, vcc
	v_cmp_lt_i32_e32 vcc, 5, v16
	v_cmp_eq_u32_e64 s[0:1], 3, v16
	v_lshrrev_b32_e32 v9, 2, v9
	v_and_b32_e32 v17, 7, v14
	s_or_b64 vcc, s[0:1], vcc
	v_cmp_lt_i32_e64 s[2:3], 5, v17
	v_cmp_eq_u32_e64 s[4:5], 3, v17
	v_addc_co_u32_e32 v9, vcc, 0, v9, vcc
	v_lshrrev_b32_e32 v14, 2, v14
	s_or_b64 vcc, s[4:5], s[2:3]
	v_addc_co_u32_e32 v14, vcc, 0, v14, vcc
	v_cmp_gt_i32_e32 vcc, 31, v13
	v_cndmask_b32_e32 v9, v0, v9, vcc
	v_cmp_gt_i32_e32 vcc, 31, v15
	v_lshl_or_b32 v7, v7, 9, v0
	v_cndmask_b32_e32 v14, v0, v14, vcc
	v_cmp_eq_u32_e32 vcc, s18, v13
	v_lshrrev_b32_e32 v10, 16, v10
	v_lshl_or_b32 v11, v11, 9, v0
	v_cndmask_b32_e32 v7, v9, v7, vcc
	v_cmp_eq_u32_e32 vcc, s18, v15
	v_lshrrev_b32_e32 v12, 16, v12
	v_cndmask_b32_e32 v9, v14, v11, vcc
	v_and_or_b32 v7, v10, s17, v7
	v_and_or_b32 v9, v12, s17, v9
	v_and_b32_e32 v7, 0xffff, v7
	v_lshl_or_b32 v7, v9, 16, v7
	global_store_dword v[5:6], v7, off
	global_load_dword v7, v43, s[6:7] offset:1152
	v_lshrrev_b32_e32 v9, 16, v8
	v_mov_b32_e32 v11, s12
	v_add_co_u32_e32 v5, vcc, s11, v5
	v_addc_co_u32_e32 v6, vcc, v6, v11, vcc
	s_waitcnt vmcnt(0)
	v_mul_f16_sdwa v10, v9, v7 dst_sel:DWORD dst_unused:UNUSED_PAD src0_sel:DWORD src1_sel:WORD_1
	v_fma_f16 v10, v8, v7, v10
	v_mul_f16_sdwa v8, v8, v7 dst_sel:DWORD dst_unused:UNUSED_PAD src0_sel:DWORD src1_sel:WORD_1
	v_cvt_f32_f16_e32 v10, v10
	v_fma_f16 v7, v7, v9, -v8
	v_cvt_f32_f16_e32 v9, v7
	v_cvt_f64_f32_e32 v[7:8], v10
	v_cvt_f64_f32_e32 v[9:10], v9
	v_mul_f64 v[7:8], v[7:8], s[14:15]
	v_mul_f64 v[9:10], v[9:10], s[14:15]
	v_and_or_b32 v7, v8, s16, v7
	v_cmp_ne_u32_e32 vcc, 0, v7
	v_and_or_b32 v9, v10, s16, v9
	v_lshrrev_b32_e32 v11, 8, v8
	v_bfe_u32 v12, v8, 20, 11
	v_cndmask_b32_e64 v7, 0, 1, vcc
	v_cmp_ne_u32_e32 vcc, 0, v9
	v_lshrrev_b32_e32 v13, 8, v10
	v_bfe_u32 v14, v10, 20, 11
	v_sub_u32_e32 v15, 0x3f1, v12
	v_cndmask_b32_e64 v9, 0, 1, vcc
	v_and_or_b32 v7, v11, s10, v7
	v_sub_u32_e32 v16, 0x3f1, v14
	v_med3_i32 v11, v15, 0, 13
	v_and_or_b32 v9, v13, s10, v9
	v_or_b32_e32 v15, 0x1000, v7
	v_add_u32_e32 v12, 0xfffffc10, v12
	v_med3_i32 v13, v16, 0, 13
	v_cmp_ne_u32_e32 vcc, 0, v7
	v_or_b32_e32 v17, 0x1000, v9
	v_lshrrev_b32_e32 v19, v11, v15
	v_add_u32_e32 v14, 0xfffffc10, v14
	v_lshl_or_b32 v16, v12, 12, v7
	v_cndmask_b32_e64 v7, 0, 1, vcc
	v_cmp_ne_u32_e32 vcc, 0, v9
	v_lshrrev_b32_e32 v20, v13, v17
	v_lshlrev_b32_e32 v11, v11, v19
	v_lshl_or_b32 v18, v14, 12, v9
	v_cndmask_b32_e64 v9, 0, 1, vcc
	v_lshlrev_b32_e32 v13, v13, v20
	v_cmp_ne_u32_e32 vcc, v11, v15
	v_cndmask_b32_e64 v11, 0, 1, vcc
	v_cmp_ne_u32_e32 vcc, v13, v17
	v_cndmask_b32_e64 v13, 0, 1, vcc
	v_or_b32_e32 v11, v19, v11
	v_cmp_gt_i32_e32 vcc, 1, v12
	v_cndmask_b32_e32 v11, v16, v11, vcc
	v_or_b32_e32 v13, v20, v13
	v_cmp_gt_i32_e32 vcc, 1, v14
	v_and_b32_e32 v15, 7, v11
	v_cndmask_b32_e32 v13, v18, v13, vcc
	v_cmp_lt_i32_e32 vcc, 5, v15
	v_cmp_eq_u32_e64 s[0:1], 3, v15
	v_lshrrev_b32_e32 v11, 2, v11
	v_and_b32_e32 v16, 7, v13
	s_or_b64 vcc, s[0:1], vcc
	v_cmp_lt_i32_e64 s[2:3], 5, v16
	v_cmp_eq_u32_e64 s[4:5], 3, v16
	v_addc_co_u32_e32 v11, vcc, 0, v11, vcc
	v_lshrrev_b32_e32 v13, 2, v13
	s_or_b64 vcc, s[4:5], s[2:3]
	v_addc_co_u32_e32 v13, vcc, 0, v13, vcc
	v_cmp_gt_i32_e32 vcc, 31, v12
	v_cndmask_b32_e32 v11, v0, v11, vcc
	v_cmp_gt_i32_e32 vcc, 31, v14
	v_lshl_or_b32 v7, v7, 9, v0
	v_cndmask_b32_e32 v13, v0, v13, vcc
	v_cmp_eq_u32_e32 vcc, s18, v12
	v_lshrrev_b32_e32 v8, 16, v8
	v_lshl_or_b32 v9, v9, 9, v0
	v_cndmask_b32_e32 v7, v11, v7, vcc
	v_cmp_eq_u32_e32 vcc, s18, v14
	v_lshrrev_b32_e32 v10, 16, v10
	v_cndmask_b32_e32 v9, v13, v9, vcc
	v_and_or_b32 v7, v8, s17, v7
	v_and_or_b32 v8, v10, s17, v9
	v_and_b32_e32 v7, 0xffff, v7
	v_lshl_or_b32 v7, v8, 16, v7
	global_store_dword v[5:6], v7, off
	global_load_dword v9, v43, s[6:7] offset:1440
	v_add_u32_e32 v7, 0x400, v44
	ds_read2_b32 v[7:8], v7 offset0:104 offset1:176
	v_add_co_u32_e32 v5, vcc, s11, v5
	s_waitcnt lgkmcnt(0)
	v_lshrrev_b32_e32 v10, 16, v7
	s_waitcnt vmcnt(0)
	v_mul_f16_sdwa v11, v10, v9 dst_sel:DWORD dst_unused:UNUSED_PAD src0_sel:DWORD src1_sel:WORD_1
	v_fma_f16 v11, v7, v9, v11
	v_mul_f16_sdwa v7, v7, v9 dst_sel:DWORD dst_unused:UNUSED_PAD src0_sel:DWORD src1_sel:WORD_1
	v_cvt_f32_f16_e32 v11, v11
	v_fma_f16 v7, v9, v10, -v7
	v_cvt_f32_f16_e32 v7, v7
	v_cvt_f64_f32_e32 v[9:10], v11
	v_cvt_f64_f32_e32 v[11:12], v7
	v_mov_b32_e32 v7, s12
	v_mul_f64 v[9:10], v[9:10], s[14:15]
	v_addc_co_u32_e32 v6, vcc, v6, v7, vcc
	v_mul_f64 v[11:12], v[11:12], s[14:15]
	v_and_or_b32 v7, v10, s16, v9
	v_cmp_ne_u32_e32 vcc, 0, v7
	v_lshrrev_b32_e32 v9, 8, v10
	v_and_or_b32 v11, v12, s16, v11
	v_bfe_u32 v13, v10, 20, 11
	v_cndmask_b32_e64 v7, 0, 1, vcc
	v_cmp_ne_u32_e32 vcc, 0, v11
	v_lshrrev_b32_e32 v14, 8, v12
	v_bfe_u32 v15, v12, 20, 11
	v_sub_u32_e32 v16, 0x3f1, v13
	v_cndmask_b32_e64 v11, 0, 1, vcc
	v_and_or_b32 v7, v9, s10, v7
	v_sub_u32_e32 v17, 0x3f1, v15
	v_med3_i32 v9, v16, 0, 13
	v_and_or_b32 v11, v14, s10, v11
	v_or_b32_e32 v16, 0x1000, v7
	v_add_u32_e32 v13, 0xfffffc10, v13
	v_med3_i32 v14, v17, 0, 13
	v_cmp_ne_u32_e32 vcc, 0, v7
	v_or_b32_e32 v18, 0x1000, v11
	v_lshrrev_b32_e32 v20, v9, v16
	v_add_u32_e32 v15, 0xfffffc10, v15
	v_lshl_or_b32 v17, v13, 12, v7
	v_cndmask_b32_e64 v7, 0, 1, vcc
	v_cmp_ne_u32_e32 vcc, 0, v11
	v_lshrrev_b32_e32 v21, v14, v18
	v_lshlrev_b32_e32 v9, v9, v20
	v_lshl_or_b32 v19, v15, 12, v11
	v_cndmask_b32_e64 v11, 0, 1, vcc
	v_lshlrev_b32_e32 v14, v14, v21
	v_cmp_ne_u32_e32 vcc, v9, v16
	v_cndmask_b32_e64 v9, 0, 1, vcc
	v_cmp_ne_u32_e32 vcc, v14, v18
	v_cndmask_b32_e64 v14, 0, 1, vcc
	v_or_b32_e32 v9, v20, v9
	v_cmp_gt_i32_e32 vcc, 1, v13
	v_cndmask_b32_e32 v9, v17, v9, vcc
	v_or_b32_e32 v14, v21, v14
	v_cmp_gt_i32_e32 vcc, 1, v15
	v_and_b32_e32 v16, 7, v9
	v_cndmask_b32_e32 v14, v19, v14, vcc
	v_cmp_lt_i32_e32 vcc, 5, v16
	v_cmp_eq_u32_e64 s[0:1], 3, v16
	v_lshrrev_b32_e32 v9, 2, v9
	v_and_b32_e32 v17, 7, v14
	s_or_b64 vcc, s[0:1], vcc
	v_cmp_lt_i32_e64 s[2:3], 5, v17
	v_cmp_eq_u32_e64 s[4:5], 3, v17
	v_addc_co_u32_e32 v9, vcc, 0, v9, vcc
	v_lshrrev_b32_e32 v14, 2, v14
	s_or_b64 vcc, s[4:5], s[2:3]
	v_addc_co_u32_e32 v14, vcc, 0, v14, vcc
	v_cmp_gt_i32_e32 vcc, 31, v13
	v_cndmask_b32_e32 v9, v0, v9, vcc
	v_cmp_gt_i32_e32 vcc, 31, v15
	v_lshl_or_b32 v7, v7, 9, v0
	v_cndmask_b32_e32 v14, v0, v14, vcc
	v_cmp_eq_u32_e32 vcc, s18, v13
	v_lshrrev_b32_e32 v10, 16, v10
	v_lshl_or_b32 v11, v11, 9, v0
	v_cndmask_b32_e32 v7, v9, v7, vcc
	v_cmp_eq_u32_e32 vcc, s18, v15
	v_lshrrev_b32_e32 v12, 16, v12
	v_cndmask_b32_e32 v9, v14, v11, vcc
	v_and_or_b32 v7, v10, s17, v7
	v_and_or_b32 v9, v12, s17, v9
	v_and_b32_e32 v7, 0xffff, v7
	v_lshl_or_b32 v7, v9, 16, v7
	global_store_dword v[5:6], v7, off
	global_load_dword v7, v43, s[6:7] offset:1728
	v_lshrrev_b32_e32 v9, 16, v8
	v_mov_b32_e32 v11, s12
	v_add_co_u32_e32 v5, vcc, s11, v5
	v_addc_co_u32_e32 v6, vcc, v6, v11, vcc
	s_waitcnt vmcnt(0)
	v_mul_f16_sdwa v10, v9, v7 dst_sel:DWORD dst_unused:UNUSED_PAD src0_sel:DWORD src1_sel:WORD_1
	v_fma_f16 v10, v8, v7, v10
	v_mul_f16_sdwa v8, v8, v7 dst_sel:DWORD dst_unused:UNUSED_PAD src0_sel:DWORD src1_sel:WORD_1
	v_cvt_f32_f16_e32 v10, v10
	v_fma_f16 v7, v7, v9, -v8
	v_cvt_f32_f16_e32 v9, v7
	v_cvt_f64_f32_e32 v[7:8], v10
	v_cvt_f64_f32_e32 v[9:10], v9
	v_mul_f64 v[7:8], v[7:8], s[14:15]
	v_mul_f64 v[9:10], v[9:10], s[14:15]
	v_and_or_b32 v7, v8, s16, v7
	v_cmp_ne_u32_e32 vcc, 0, v7
	v_and_or_b32 v9, v10, s16, v9
	v_lshrrev_b32_e32 v11, 8, v8
	v_bfe_u32 v12, v8, 20, 11
	v_cndmask_b32_e64 v7, 0, 1, vcc
	v_cmp_ne_u32_e32 vcc, 0, v9
	v_lshrrev_b32_e32 v13, 8, v10
	v_bfe_u32 v14, v10, 20, 11
	v_sub_u32_e32 v15, 0x3f1, v12
	v_cndmask_b32_e64 v9, 0, 1, vcc
	v_and_or_b32 v7, v11, s10, v7
	v_sub_u32_e32 v16, 0x3f1, v14
	v_med3_i32 v11, v15, 0, 13
	v_and_or_b32 v9, v13, s10, v9
	v_or_b32_e32 v15, 0x1000, v7
	v_add_u32_e32 v12, 0xfffffc10, v12
	v_med3_i32 v13, v16, 0, 13
	v_cmp_ne_u32_e32 vcc, 0, v7
	v_or_b32_e32 v17, 0x1000, v9
	v_lshrrev_b32_e32 v19, v11, v15
	v_add_u32_e32 v14, 0xfffffc10, v14
	v_lshl_or_b32 v16, v12, 12, v7
	v_cndmask_b32_e64 v7, 0, 1, vcc
	v_cmp_ne_u32_e32 vcc, 0, v9
	v_lshrrev_b32_e32 v20, v13, v17
	v_lshlrev_b32_e32 v11, v11, v19
	v_lshl_or_b32 v18, v14, 12, v9
	v_cndmask_b32_e64 v9, 0, 1, vcc
	v_lshlrev_b32_e32 v13, v13, v20
	v_cmp_ne_u32_e32 vcc, v11, v15
	v_cndmask_b32_e64 v11, 0, 1, vcc
	v_cmp_ne_u32_e32 vcc, v13, v17
	v_cndmask_b32_e64 v13, 0, 1, vcc
	v_or_b32_e32 v11, v19, v11
	v_cmp_gt_i32_e32 vcc, 1, v12
	v_cndmask_b32_e32 v11, v16, v11, vcc
	v_or_b32_e32 v13, v20, v13
	v_cmp_gt_i32_e32 vcc, 1, v14
	v_and_b32_e32 v15, 7, v11
	v_cndmask_b32_e32 v13, v18, v13, vcc
	v_cmp_lt_i32_e32 vcc, 5, v15
	v_cmp_eq_u32_e64 s[0:1], 3, v15
	v_lshrrev_b32_e32 v11, 2, v11
	v_and_b32_e32 v16, 7, v13
	s_or_b64 vcc, s[0:1], vcc
	v_cmp_lt_i32_e64 s[2:3], 5, v16
	v_cmp_eq_u32_e64 s[4:5], 3, v16
	v_addc_co_u32_e32 v11, vcc, 0, v11, vcc
	v_lshrrev_b32_e32 v13, 2, v13
	s_or_b64 vcc, s[4:5], s[2:3]
	v_addc_co_u32_e32 v13, vcc, 0, v13, vcc
	v_cmp_gt_i32_e32 vcc, 31, v12
	v_cndmask_b32_e32 v11, v0, v11, vcc
	v_cmp_gt_i32_e32 vcc, 31, v14
	v_lshl_or_b32 v7, v7, 9, v0
	v_cndmask_b32_e32 v13, v0, v13, vcc
	v_cmp_eq_u32_e32 vcc, s18, v12
	v_lshrrev_b32_e32 v8, 16, v8
	v_lshl_or_b32 v9, v9, 9, v0
	v_cndmask_b32_e32 v7, v11, v7, vcc
	v_cmp_eq_u32_e32 vcc, s18, v14
	v_lshrrev_b32_e32 v10, 16, v10
	v_cndmask_b32_e32 v9, v13, v9, vcc
	v_and_or_b32 v7, v8, s17, v7
	v_and_or_b32 v8, v10, s17, v9
	v_and_b32_e32 v7, 0xffff, v7
	v_lshl_or_b32 v7, v8, 16, v7
	global_store_dword v[5:6], v7, off
	global_load_dword v9, v43, s[6:7] offset:2016
	ds_read2_b32 v[7:8], v4 offset0:120 offset1:192
	s_waitcnt lgkmcnt(0)
	v_lshrrev_b32_e32 v4, 16, v7
	s_waitcnt vmcnt(0)
	v_mul_f16_sdwa v10, v4, v9 dst_sel:DWORD dst_unused:UNUSED_PAD src0_sel:DWORD src1_sel:WORD_1
	v_fma_f16 v10, v7, v9, v10
	v_mul_f16_sdwa v7, v7, v9 dst_sel:DWORD dst_unused:UNUSED_PAD src0_sel:DWORD src1_sel:WORD_1
	v_cvt_f32_f16_e32 v10, v10
	v_fma_f16 v4, v9, v4, -v7
	v_cvt_f32_f16_e32 v4, v4
	v_mov_b32_e32 v7, s12
	v_cvt_f64_f32_e32 v[9:10], v10
	v_cvt_f64_f32_e32 v[11:12], v4
	v_add_co_u32_e32 v4, vcc, s11, v5
	v_mul_f64 v[9:10], v[9:10], s[14:15]
	v_mul_f64 v[11:12], v[11:12], s[14:15]
	v_addc_co_u32_e32 v5, vcc, v6, v7, vcc
	v_and_or_b32 v6, v10, s16, v9
	v_and_or_b32 v11, v12, s16, v11
	v_cmp_ne_u32_e32 vcc, 0, v6
	v_lshrrev_b32_e32 v7, 8, v10
	v_bfe_u32 v9, v10, 20, 11
	v_cndmask_b32_e64 v6, 0, 1, vcc
	v_cmp_ne_u32_e32 vcc, 0, v11
	v_lshrrev_b32_e32 v13, 8, v12
	v_bfe_u32 v14, v12, 20, 11
	v_sub_u32_e32 v15, 0x3f1, v9
	v_cndmask_b32_e64 v11, 0, 1, vcc
	v_and_or_b32 v6, v7, s10, v6
	v_sub_u32_e32 v16, 0x3f1, v14
	v_med3_i32 v7, v15, 0, 13
	v_and_or_b32 v11, v13, s10, v11
	v_or_b32_e32 v15, 0x1000, v6
	v_add_u32_e32 v9, 0xfffffc10, v9
	v_med3_i32 v13, v16, 0, 13
	v_cmp_ne_u32_e32 vcc, 0, v6
	v_or_b32_e32 v17, 0x1000, v11
	v_lshrrev_b32_e32 v19, v7, v15
	v_add_u32_e32 v14, 0xfffffc10, v14
	v_lshl_or_b32 v16, v9, 12, v6
	v_cndmask_b32_e64 v6, 0, 1, vcc
	v_cmp_ne_u32_e32 vcc, 0, v11
	v_lshrrev_b32_e32 v20, v13, v17
	v_lshlrev_b32_e32 v7, v7, v19
	v_lshl_or_b32 v18, v14, 12, v11
	v_cndmask_b32_e64 v11, 0, 1, vcc
	v_lshlrev_b32_e32 v13, v13, v20
	v_cmp_ne_u32_e32 vcc, v7, v15
	v_cndmask_b32_e64 v7, 0, 1, vcc
	v_cmp_ne_u32_e32 vcc, v13, v17
	v_cndmask_b32_e64 v13, 0, 1, vcc
	v_or_b32_e32 v7, v19, v7
	v_cmp_gt_i32_e32 vcc, 1, v9
	v_cndmask_b32_e32 v7, v16, v7, vcc
	v_or_b32_e32 v13, v20, v13
	v_cmp_gt_i32_e32 vcc, 1, v14
	v_and_b32_e32 v15, 7, v7
	v_cndmask_b32_e32 v13, v18, v13, vcc
	v_cmp_lt_i32_e32 vcc, 5, v15
	v_cmp_eq_u32_e64 s[0:1], 3, v15
	v_lshrrev_b32_e32 v7, 2, v7
	v_and_b32_e32 v16, 7, v13
	s_or_b64 vcc, s[0:1], vcc
	v_cmp_lt_i32_e64 s[2:3], 5, v16
	v_cmp_eq_u32_e64 s[4:5], 3, v16
	v_addc_co_u32_e32 v7, vcc, 0, v7, vcc
	v_lshrrev_b32_e32 v13, 2, v13
	s_or_b64 vcc, s[4:5], s[2:3]
	v_addc_co_u32_e32 v13, vcc, 0, v13, vcc
	v_cmp_gt_i32_e32 vcc, 31, v9
	v_cndmask_b32_e32 v7, v0, v7, vcc
	v_cmp_gt_i32_e32 vcc, 31, v14
	v_lshl_or_b32 v6, v6, 9, v0
	v_cndmask_b32_e32 v13, v0, v13, vcc
	v_cmp_eq_u32_e32 vcc, s18, v9
	v_lshrrev_b32_e32 v10, 16, v10
	v_lshl_or_b32 v11, v11, 9, v0
	v_cndmask_b32_e32 v6, v7, v6, vcc
	v_cmp_eq_u32_e32 vcc, s18, v14
	v_lshrrev_b32_e32 v12, 16, v12
	v_cndmask_b32_e32 v7, v13, v11, vcc
	v_and_or_b32 v6, v10, s17, v6
	v_and_or_b32 v7, v12, s17, v7
	v_and_b32_e32 v6, 0xffff, v6
	v_lshl_or_b32 v6, v7, 16, v6
	global_store_dword v[4:5], v6, off
	global_load_dword v6, v43, s[6:7] offset:2304
	v_lshrrev_b32_e32 v7, 16, v8
	v_mov_b32_e32 v10, s12
	v_add_co_u32_e32 v4, vcc, s11, v4
	v_addc_co_u32_e32 v5, vcc, v5, v10, vcc
	s_waitcnt vmcnt(0)
	v_mul_f16_sdwa v9, v7, v6 dst_sel:DWORD dst_unused:UNUSED_PAD src0_sel:DWORD src1_sel:WORD_1
	v_fma_f16 v9, v8, v6, v9
	v_mul_f16_sdwa v8, v8, v6 dst_sel:DWORD dst_unused:UNUSED_PAD src0_sel:DWORD src1_sel:WORD_1
	v_cvt_f32_f16_e32 v9, v9
	v_fma_f16 v6, v6, v7, -v8
	v_cvt_f32_f16_e32 v8, v6
	v_cvt_f64_f32_e32 v[6:7], v9
	v_cvt_f64_f32_e32 v[8:9], v8
	v_mul_f64 v[6:7], v[6:7], s[14:15]
	v_mul_f64 v[8:9], v[8:9], s[14:15]
	v_and_or_b32 v6, v7, s16, v6
	v_cmp_ne_u32_e32 vcc, 0, v6
	v_and_or_b32 v8, v9, s16, v8
	v_lshrrev_b32_e32 v10, 8, v7
	v_bfe_u32 v11, v7, 20, 11
	v_cndmask_b32_e64 v6, 0, 1, vcc
	v_cmp_ne_u32_e32 vcc, 0, v8
	v_lshrrev_b32_e32 v12, 8, v9
	v_bfe_u32 v13, v9, 20, 11
	v_sub_u32_e32 v14, 0x3f1, v11
	v_cndmask_b32_e64 v8, 0, 1, vcc
	v_and_or_b32 v6, v10, s10, v6
	v_sub_u32_e32 v15, 0x3f1, v13
	v_med3_i32 v10, v14, 0, 13
	v_and_or_b32 v8, v12, s10, v8
	v_or_b32_e32 v14, 0x1000, v6
	v_add_u32_e32 v11, 0xfffffc10, v11
	v_med3_i32 v12, v15, 0, 13
	v_cmp_ne_u32_e32 vcc, 0, v6
	v_or_b32_e32 v16, 0x1000, v8
	v_lshrrev_b32_e32 v18, v10, v14
	v_add_u32_e32 v13, 0xfffffc10, v13
	v_lshl_or_b32 v15, v11, 12, v6
	v_cndmask_b32_e64 v6, 0, 1, vcc
	v_cmp_ne_u32_e32 vcc, 0, v8
	v_lshrrev_b32_e32 v19, v12, v16
	v_lshlrev_b32_e32 v10, v10, v18
	v_lshl_or_b32 v17, v13, 12, v8
	v_cndmask_b32_e64 v8, 0, 1, vcc
	v_lshlrev_b32_e32 v12, v12, v19
	v_cmp_ne_u32_e32 vcc, v10, v14
	v_cndmask_b32_e64 v10, 0, 1, vcc
	v_cmp_ne_u32_e32 vcc, v12, v16
	v_cndmask_b32_e64 v12, 0, 1, vcc
	v_or_b32_e32 v10, v18, v10
	v_cmp_gt_i32_e32 vcc, 1, v11
	v_cndmask_b32_e32 v10, v15, v10, vcc
	v_or_b32_e32 v12, v19, v12
	v_cmp_gt_i32_e32 vcc, 1, v13
	v_and_b32_e32 v14, 7, v10
	v_cndmask_b32_e32 v12, v17, v12, vcc
	v_cmp_lt_i32_e32 vcc, 5, v14
	v_cmp_eq_u32_e64 s[0:1], 3, v14
	v_lshrrev_b32_e32 v10, 2, v10
	v_and_b32_e32 v15, 7, v12
	s_or_b64 vcc, s[0:1], vcc
	v_cmp_lt_i32_e64 s[2:3], 5, v15
	v_cmp_eq_u32_e64 s[4:5], 3, v15
	v_addc_co_u32_e32 v10, vcc, 0, v10, vcc
	v_lshrrev_b32_e32 v12, 2, v12
	s_or_b64 vcc, s[4:5], s[2:3]
	v_addc_co_u32_e32 v12, vcc, 0, v12, vcc
	v_cmp_gt_i32_e32 vcc, 31, v11
	v_cndmask_b32_e32 v10, v0, v10, vcc
	v_cmp_gt_i32_e32 vcc, 31, v13
	v_lshl_or_b32 v6, v6, 9, v0
	v_cndmask_b32_e32 v12, v0, v12, vcc
	v_cmp_eq_u32_e32 vcc, s18, v11
	v_lshrrev_b32_e32 v7, 16, v7
	v_lshl_or_b32 v8, v8, 9, v0
	v_cndmask_b32_e32 v6, v10, v6, vcc
	v_cmp_eq_u32_e32 vcc, s18, v13
	v_lshrrev_b32_e32 v9, 16, v9
	v_cndmask_b32_e32 v8, v12, v8, vcc
	v_and_or_b32 v6, v7, s17, v6
	v_and_or_b32 v7, v9, s17, v8
	v_and_b32_e32 v6, 0xffff, v6
	v_lshl_or_b32 v6, v7, 16, v6
	global_store_dword v[4:5], v6, off
	global_load_dword v8, v43, s[6:7] offset:2592
	v_add_u32_e32 v6, 0x800, v44
	ds_read2_b32 v[6:7], v6 offset0:136 offset1:208
	v_add_co_u32_e32 v4, vcc, s11, v4
	s_waitcnt lgkmcnt(0)
	v_lshrrev_b32_e32 v9, 16, v6
	s_waitcnt vmcnt(0)
	v_mul_f16_sdwa v10, v9, v8 dst_sel:DWORD dst_unused:UNUSED_PAD src0_sel:DWORD src1_sel:WORD_1
	v_fma_f16 v10, v6, v8, v10
	v_mul_f16_sdwa v6, v6, v8 dst_sel:DWORD dst_unused:UNUSED_PAD src0_sel:DWORD src1_sel:WORD_1
	v_cvt_f32_f16_e32 v10, v10
	v_fma_f16 v6, v8, v9, -v6
	v_cvt_f32_f16_e32 v6, v6
	v_cvt_f64_f32_e32 v[8:9], v10
	v_cvt_f64_f32_e32 v[10:11], v6
	v_mov_b32_e32 v6, s12
	v_mul_f64 v[8:9], v[8:9], s[14:15]
	v_addc_co_u32_e32 v5, vcc, v5, v6, vcc
	v_mul_f64 v[10:11], v[10:11], s[14:15]
	v_and_or_b32 v6, v9, s16, v8
	v_cmp_ne_u32_e32 vcc, 0, v6
	v_lshrrev_b32_e32 v8, 8, v9
	v_and_or_b32 v10, v11, s16, v10
	v_bfe_u32 v12, v9, 20, 11
	v_cndmask_b32_e64 v6, 0, 1, vcc
	v_cmp_ne_u32_e32 vcc, 0, v10
	v_lshrrev_b32_e32 v13, 8, v11
	v_bfe_u32 v14, v11, 20, 11
	v_sub_u32_e32 v15, 0x3f1, v12
	v_cndmask_b32_e64 v10, 0, 1, vcc
	v_and_or_b32 v6, v8, s10, v6
	v_sub_u32_e32 v16, 0x3f1, v14
	v_med3_i32 v8, v15, 0, 13
	v_and_or_b32 v10, v13, s10, v10
	v_or_b32_e32 v15, 0x1000, v6
	v_add_u32_e32 v12, 0xfffffc10, v12
	v_med3_i32 v13, v16, 0, 13
	v_cmp_ne_u32_e32 vcc, 0, v6
	v_or_b32_e32 v17, 0x1000, v10
	v_lshrrev_b32_e32 v19, v8, v15
	v_add_u32_e32 v14, 0xfffffc10, v14
	v_lshl_or_b32 v16, v12, 12, v6
	v_cndmask_b32_e64 v6, 0, 1, vcc
	v_cmp_ne_u32_e32 vcc, 0, v10
	v_lshrrev_b32_e32 v20, v13, v17
	v_lshlrev_b32_e32 v8, v8, v19
	v_lshl_or_b32 v18, v14, 12, v10
	v_cndmask_b32_e64 v10, 0, 1, vcc
	v_lshlrev_b32_e32 v13, v13, v20
	v_cmp_ne_u32_e32 vcc, v8, v15
	v_cndmask_b32_e64 v8, 0, 1, vcc
	v_cmp_ne_u32_e32 vcc, v13, v17
	v_cndmask_b32_e64 v13, 0, 1, vcc
	v_or_b32_e32 v8, v19, v8
	v_cmp_gt_i32_e32 vcc, 1, v12
	v_cndmask_b32_e32 v8, v16, v8, vcc
	v_or_b32_e32 v13, v20, v13
	v_cmp_gt_i32_e32 vcc, 1, v14
	v_and_b32_e32 v15, 7, v8
	v_cndmask_b32_e32 v13, v18, v13, vcc
	v_cmp_lt_i32_e32 vcc, 5, v15
	v_cmp_eq_u32_e64 s[0:1], 3, v15
	v_lshrrev_b32_e32 v8, 2, v8
	v_and_b32_e32 v16, 7, v13
	s_or_b64 vcc, s[0:1], vcc
	v_cmp_lt_i32_e64 s[2:3], 5, v16
	v_cmp_eq_u32_e64 s[4:5], 3, v16
	v_addc_co_u32_e32 v8, vcc, 0, v8, vcc
	v_lshrrev_b32_e32 v13, 2, v13
	s_or_b64 vcc, s[4:5], s[2:3]
	v_addc_co_u32_e32 v13, vcc, 0, v13, vcc
	v_cmp_gt_i32_e32 vcc, 31, v12
	v_cndmask_b32_e32 v8, v0, v8, vcc
	v_cmp_gt_i32_e32 vcc, 31, v14
	v_lshl_or_b32 v6, v6, 9, v0
	v_cndmask_b32_e32 v13, v0, v13, vcc
	v_cmp_eq_u32_e32 vcc, s18, v12
	v_lshrrev_b32_e32 v9, 16, v9
	v_lshl_or_b32 v10, v10, 9, v0
	v_cndmask_b32_e32 v6, v8, v6, vcc
	v_cmp_eq_u32_e32 vcc, s18, v14
	v_lshrrev_b32_e32 v11, 16, v11
	v_cndmask_b32_e32 v8, v13, v10, vcc
	v_and_or_b32 v6, v9, s17, v6
	v_and_or_b32 v8, v11, s17, v8
	v_and_b32_e32 v6, 0xffff, v6
	v_lshl_or_b32 v6, v8, 16, v6
	global_store_dword v[4:5], v6, off
	global_load_dword v6, v43, s[6:7] offset:2880
	v_lshrrev_b32_e32 v8, 16, v7
	v_mov_b32_e32 v10, s12
	v_add_co_u32_e32 v4, vcc, s11, v4
	v_addc_co_u32_e32 v5, vcc, v5, v10, vcc
	s_waitcnt vmcnt(0)
	v_mul_f16_sdwa v9, v8, v6 dst_sel:DWORD dst_unused:UNUSED_PAD src0_sel:DWORD src1_sel:WORD_1
	v_fma_f16 v9, v7, v6, v9
	v_mul_f16_sdwa v7, v7, v6 dst_sel:DWORD dst_unused:UNUSED_PAD src0_sel:DWORD src1_sel:WORD_1
	v_cvt_f32_f16_e32 v9, v9
	v_fma_f16 v6, v6, v8, -v7
	v_cvt_f32_f16_e32 v8, v6
	v_cvt_f64_f32_e32 v[6:7], v9
	v_cvt_f64_f32_e32 v[8:9], v8
	v_mul_f64 v[6:7], v[6:7], s[14:15]
	v_mul_f64 v[8:9], v[8:9], s[14:15]
	v_and_or_b32 v6, v7, s16, v6
	v_cmp_ne_u32_e32 vcc, 0, v6
	v_and_or_b32 v8, v9, s16, v8
	v_lshrrev_b32_e32 v10, 8, v7
	v_bfe_u32 v11, v7, 20, 11
	v_cndmask_b32_e64 v6, 0, 1, vcc
	v_cmp_ne_u32_e32 vcc, 0, v8
	v_lshrrev_b32_e32 v12, 8, v9
	v_bfe_u32 v13, v9, 20, 11
	v_sub_u32_e32 v14, 0x3f1, v11
	v_cndmask_b32_e64 v8, 0, 1, vcc
	v_and_or_b32 v6, v10, s10, v6
	v_sub_u32_e32 v15, 0x3f1, v13
	v_med3_i32 v10, v14, 0, 13
	v_and_or_b32 v8, v12, s10, v8
	v_or_b32_e32 v14, 0x1000, v6
	v_add_u32_e32 v11, 0xfffffc10, v11
	v_med3_i32 v12, v15, 0, 13
	v_cmp_ne_u32_e32 vcc, 0, v6
	v_or_b32_e32 v16, 0x1000, v8
	v_lshrrev_b32_e32 v18, v10, v14
	v_add_u32_e32 v13, 0xfffffc10, v13
	v_lshl_or_b32 v15, v11, 12, v6
	v_cndmask_b32_e64 v6, 0, 1, vcc
	v_cmp_ne_u32_e32 vcc, 0, v8
	v_lshrrev_b32_e32 v19, v12, v16
	v_lshlrev_b32_e32 v10, v10, v18
	v_lshl_or_b32 v17, v13, 12, v8
	v_cndmask_b32_e64 v8, 0, 1, vcc
	v_lshlrev_b32_e32 v12, v12, v19
	v_cmp_ne_u32_e32 vcc, v10, v14
	v_cndmask_b32_e64 v10, 0, 1, vcc
	v_cmp_ne_u32_e32 vcc, v12, v16
	v_cndmask_b32_e64 v12, 0, 1, vcc
	v_or_b32_e32 v10, v18, v10
	v_cmp_gt_i32_e32 vcc, 1, v11
	v_cndmask_b32_e32 v10, v15, v10, vcc
	v_or_b32_e32 v12, v19, v12
	v_cmp_gt_i32_e32 vcc, 1, v13
	v_and_b32_e32 v14, 7, v10
	v_cndmask_b32_e32 v12, v17, v12, vcc
	v_cmp_lt_i32_e32 vcc, 5, v14
	v_cmp_eq_u32_e64 s[0:1], 3, v14
	v_lshrrev_b32_e32 v10, 2, v10
	v_and_b32_e32 v15, 7, v12
	s_or_b64 vcc, s[0:1], vcc
	v_cmp_lt_i32_e64 s[2:3], 5, v15
	v_cmp_eq_u32_e64 s[4:5], 3, v15
	v_addc_co_u32_e32 v10, vcc, 0, v10, vcc
	v_lshrrev_b32_e32 v12, 2, v12
	s_or_b64 vcc, s[4:5], s[2:3]
	v_addc_co_u32_e32 v12, vcc, 0, v12, vcc
	v_cmp_gt_i32_e32 vcc, 31, v11
	v_cndmask_b32_e32 v10, v0, v10, vcc
	v_cmp_gt_i32_e32 vcc, 31, v13
	v_lshl_or_b32 v6, v6, 9, v0
	v_cndmask_b32_e32 v12, v0, v12, vcc
	v_cmp_eq_u32_e32 vcc, s18, v11
	v_lshrrev_b32_e32 v7, 16, v7
	v_lshl_or_b32 v8, v8, 9, v0
	v_cndmask_b32_e32 v6, v10, v6, vcc
	v_cmp_eq_u32_e32 vcc, s18, v13
	v_lshrrev_b32_e32 v9, 16, v9
	v_cndmask_b32_e32 v8, v12, v8, vcc
	v_and_or_b32 v6, v7, s17, v6
	v_and_or_b32 v7, v9, s17, v8
	v_and_b32_e32 v6, 0xffff, v6
	v_lshl_or_b32 v6, v7, 16, v6
	global_store_dword v[4:5], v6, off
	global_load_dword v8, v43, s[6:7] offset:3168
	ds_read2_b32 v[6:7], v3 offset0:24 offset1:96
	v_add_co_u32_e32 v4, vcc, s11, v4
	s_waitcnt lgkmcnt(0)
	v_lshrrev_b32_e32 v9, 16, v6
	s_waitcnt vmcnt(0)
	v_mul_f16_sdwa v10, v9, v8 dst_sel:DWORD dst_unused:UNUSED_PAD src0_sel:DWORD src1_sel:WORD_1
	v_fma_f16 v10, v6, v8, v10
	v_mul_f16_sdwa v6, v6, v8 dst_sel:DWORD dst_unused:UNUSED_PAD src0_sel:DWORD src1_sel:WORD_1
	v_cvt_f32_f16_e32 v10, v10
	v_fma_f16 v6, v8, v9, -v6
	v_cvt_f32_f16_e32 v6, v6
	v_cvt_f64_f32_e32 v[8:9], v10
	v_cvt_f64_f32_e32 v[10:11], v6
	v_mov_b32_e32 v6, s12
	v_mul_f64 v[8:9], v[8:9], s[14:15]
	v_addc_co_u32_e32 v5, vcc, v5, v6, vcc
	v_mul_f64 v[10:11], v[10:11], s[14:15]
	v_and_or_b32 v6, v9, s16, v8
	v_cmp_ne_u32_e32 vcc, 0, v6
	v_lshrrev_b32_e32 v8, 8, v9
	v_and_or_b32 v10, v11, s16, v10
	v_bfe_u32 v12, v9, 20, 11
	v_cndmask_b32_e64 v6, 0, 1, vcc
	v_cmp_ne_u32_e32 vcc, 0, v10
	v_lshrrev_b32_e32 v13, 8, v11
	v_bfe_u32 v14, v11, 20, 11
	v_sub_u32_e32 v15, 0x3f1, v12
	v_cndmask_b32_e64 v10, 0, 1, vcc
	v_and_or_b32 v6, v8, s10, v6
	v_sub_u32_e32 v16, 0x3f1, v14
	v_med3_i32 v8, v15, 0, 13
	v_and_or_b32 v10, v13, s10, v10
	v_or_b32_e32 v15, 0x1000, v6
	v_add_u32_e32 v12, 0xfffffc10, v12
	v_med3_i32 v13, v16, 0, 13
	v_cmp_ne_u32_e32 vcc, 0, v6
	v_or_b32_e32 v17, 0x1000, v10
	v_lshrrev_b32_e32 v19, v8, v15
	v_add_u32_e32 v14, 0xfffffc10, v14
	v_lshl_or_b32 v16, v12, 12, v6
	v_cndmask_b32_e64 v6, 0, 1, vcc
	v_cmp_ne_u32_e32 vcc, 0, v10
	v_lshrrev_b32_e32 v20, v13, v17
	v_lshlrev_b32_e32 v8, v8, v19
	v_lshl_or_b32 v18, v14, 12, v10
	v_cndmask_b32_e64 v10, 0, 1, vcc
	v_lshlrev_b32_e32 v13, v13, v20
	v_cmp_ne_u32_e32 vcc, v8, v15
	v_cndmask_b32_e64 v8, 0, 1, vcc
	v_cmp_ne_u32_e32 vcc, v13, v17
	v_cndmask_b32_e64 v13, 0, 1, vcc
	v_or_b32_e32 v8, v19, v8
	v_cmp_gt_i32_e32 vcc, 1, v12
	v_cndmask_b32_e32 v8, v16, v8, vcc
	v_or_b32_e32 v13, v20, v13
	v_cmp_gt_i32_e32 vcc, 1, v14
	v_and_b32_e32 v15, 7, v8
	v_cndmask_b32_e32 v13, v18, v13, vcc
	v_cmp_lt_i32_e32 vcc, 5, v15
	v_cmp_eq_u32_e64 s[0:1], 3, v15
	v_lshrrev_b32_e32 v8, 2, v8
	v_and_b32_e32 v16, 7, v13
	s_or_b64 vcc, s[0:1], vcc
	v_cmp_lt_i32_e64 s[2:3], 5, v16
	v_cmp_eq_u32_e64 s[4:5], 3, v16
	v_addc_co_u32_e32 v8, vcc, 0, v8, vcc
	v_lshrrev_b32_e32 v13, 2, v13
	s_or_b64 vcc, s[4:5], s[2:3]
	v_addc_co_u32_e32 v13, vcc, 0, v13, vcc
	v_cmp_gt_i32_e32 vcc, 31, v12
	v_cndmask_b32_e32 v8, v0, v8, vcc
	v_cmp_gt_i32_e32 vcc, 31, v14
	v_lshl_or_b32 v6, v6, 9, v0
	v_cndmask_b32_e32 v13, v0, v13, vcc
	v_cmp_eq_u32_e32 vcc, s18, v12
	v_lshrrev_b32_e32 v9, 16, v9
	v_lshl_or_b32 v10, v10, 9, v0
	v_cndmask_b32_e32 v6, v8, v6, vcc
	v_cmp_eq_u32_e32 vcc, s18, v14
	v_lshrrev_b32_e32 v11, 16, v11
	v_cndmask_b32_e32 v8, v13, v10, vcc
	v_and_or_b32 v6, v9, s17, v6
	v_and_or_b32 v8, v11, s17, v8
	v_and_b32_e32 v6, 0xffff, v6
	v_lshl_or_b32 v6, v8, 16, v6
	global_store_dword v[4:5], v6, off
	global_load_dword v6, v43, s[6:7] offset:3456
	v_lshrrev_b32_e32 v8, 16, v7
	v_mov_b32_e32 v10, s12
	v_add_co_u32_e32 v4, vcc, s11, v4
	v_addc_co_u32_e32 v5, vcc, v5, v10, vcc
	s_waitcnt vmcnt(0)
	v_mul_f16_sdwa v9, v8, v6 dst_sel:DWORD dst_unused:UNUSED_PAD src0_sel:DWORD src1_sel:WORD_1
	v_fma_f16 v9, v7, v6, v9
	v_mul_f16_sdwa v7, v7, v6 dst_sel:DWORD dst_unused:UNUSED_PAD src0_sel:DWORD src1_sel:WORD_1
	v_cvt_f32_f16_e32 v9, v9
	v_fma_f16 v6, v6, v8, -v7
	v_cvt_f32_f16_e32 v8, v6
	v_cvt_f64_f32_e32 v[6:7], v9
	v_cvt_f64_f32_e32 v[8:9], v8
	v_mul_f64 v[6:7], v[6:7], s[14:15]
	v_mul_f64 v[8:9], v[8:9], s[14:15]
	v_and_or_b32 v6, v7, s16, v6
	v_cmp_ne_u32_e32 vcc, 0, v6
	v_and_or_b32 v8, v9, s16, v8
	v_lshrrev_b32_e32 v10, 8, v7
	v_bfe_u32 v11, v7, 20, 11
	v_cndmask_b32_e64 v6, 0, 1, vcc
	v_cmp_ne_u32_e32 vcc, 0, v8
	v_lshrrev_b32_e32 v12, 8, v9
	v_bfe_u32 v13, v9, 20, 11
	v_sub_u32_e32 v14, 0x3f1, v11
	v_cndmask_b32_e64 v8, 0, 1, vcc
	v_and_or_b32 v6, v10, s10, v6
	v_sub_u32_e32 v15, 0x3f1, v13
	v_med3_i32 v10, v14, 0, 13
	v_and_or_b32 v8, v12, s10, v8
	v_or_b32_e32 v14, 0x1000, v6
	v_add_u32_e32 v11, 0xfffffc10, v11
	v_med3_i32 v12, v15, 0, 13
	v_cmp_ne_u32_e32 vcc, 0, v6
	v_or_b32_e32 v16, 0x1000, v8
	v_lshrrev_b32_e32 v18, v10, v14
	v_add_u32_e32 v13, 0xfffffc10, v13
	v_lshl_or_b32 v15, v11, 12, v6
	v_cndmask_b32_e64 v6, 0, 1, vcc
	v_cmp_ne_u32_e32 vcc, 0, v8
	v_lshrrev_b32_e32 v19, v12, v16
	v_lshlrev_b32_e32 v10, v10, v18
	v_lshl_or_b32 v17, v13, 12, v8
	v_cndmask_b32_e64 v8, 0, 1, vcc
	v_lshlrev_b32_e32 v12, v12, v19
	v_cmp_ne_u32_e32 vcc, v10, v14
	v_cndmask_b32_e64 v10, 0, 1, vcc
	v_cmp_ne_u32_e32 vcc, v12, v16
	v_cndmask_b32_e64 v12, 0, 1, vcc
	v_or_b32_e32 v10, v18, v10
	v_cmp_gt_i32_e32 vcc, 1, v11
	v_cndmask_b32_e32 v10, v15, v10, vcc
	v_or_b32_e32 v12, v19, v12
	v_cmp_gt_i32_e32 vcc, 1, v13
	v_and_b32_e32 v14, 7, v10
	v_cndmask_b32_e32 v12, v17, v12, vcc
	v_cmp_lt_i32_e32 vcc, 5, v14
	v_cmp_eq_u32_e64 s[0:1], 3, v14
	v_lshrrev_b32_e32 v10, 2, v10
	v_and_b32_e32 v15, 7, v12
	s_or_b64 vcc, s[0:1], vcc
	v_cmp_lt_i32_e64 s[2:3], 5, v15
	v_cmp_eq_u32_e64 s[4:5], 3, v15
	v_addc_co_u32_e32 v10, vcc, 0, v10, vcc
	v_lshrrev_b32_e32 v12, 2, v12
	s_or_b64 vcc, s[4:5], s[2:3]
	v_addc_co_u32_e32 v12, vcc, 0, v12, vcc
	v_cmp_gt_i32_e32 vcc, 31, v11
	v_cndmask_b32_e32 v10, v0, v10, vcc
	v_cmp_gt_i32_e32 vcc, 31, v13
	v_lshl_or_b32 v6, v6, 9, v0
	v_cndmask_b32_e32 v12, v0, v12, vcc
	v_cmp_eq_u32_e32 vcc, s18, v11
	v_lshrrev_b32_e32 v7, 16, v7
	v_lshl_or_b32 v8, v8, 9, v0
	v_cndmask_b32_e32 v6, v10, v6, vcc
	v_cmp_eq_u32_e32 vcc, s18, v13
	v_lshrrev_b32_e32 v9, 16, v9
	v_cndmask_b32_e32 v8, v12, v8, vcc
	v_and_or_b32 v6, v7, s17, v6
	v_and_or_b32 v7, v9, s17, v8
	v_and_b32_e32 v6, 0xffff, v6
	v_lshl_or_b32 v6, v7, 16, v6
	global_store_dword v[4:5], v6, off
	global_load_dword v8, v43, s[6:7] offset:3744
	ds_read2_b32 v[6:7], v3 offset0:168 offset1:240
	s_waitcnt lgkmcnt(0)
	v_lshrrev_b32_e32 v3, 16, v6
	s_waitcnt vmcnt(0)
	v_mul_f16_sdwa v9, v3, v8 dst_sel:DWORD dst_unused:UNUSED_PAD src0_sel:DWORD src1_sel:WORD_1
	v_fma_f16 v9, v6, v8, v9
	v_mul_f16_sdwa v6, v6, v8 dst_sel:DWORD dst_unused:UNUSED_PAD src0_sel:DWORD src1_sel:WORD_1
	v_cvt_f32_f16_e32 v9, v9
	v_fma_f16 v3, v8, v3, -v6
	v_cvt_f32_f16_e32 v3, v3
	v_mov_b32_e32 v6, s12
	v_cvt_f64_f32_e32 v[8:9], v9
	v_cvt_f64_f32_e32 v[10:11], v3
	v_add_co_u32_e32 v3, vcc, s11, v4
	v_mul_f64 v[8:9], v[8:9], s[14:15]
	v_mul_f64 v[10:11], v[10:11], s[14:15]
	v_addc_co_u32_e32 v4, vcc, v5, v6, vcc
	v_and_or_b32 v5, v9, s16, v8
	v_and_or_b32 v10, v11, s16, v10
	v_cmp_ne_u32_e32 vcc, 0, v5
	v_lshrrev_b32_e32 v6, 8, v9
	v_bfe_u32 v8, v9, 20, 11
	v_cndmask_b32_e64 v5, 0, 1, vcc
	v_cmp_ne_u32_e32 vcc, 0, v10
	v_lshrrev_b32_e32 v12, 8, v11
	v_bfe_u32 v13, v11, 20, 11
	v_sub_u32_e32 v14, 0x3f1, v8
	v_cndmask_b32_e64 v10, 0, 1, vcc
	v_and_or_b32 v5, v6, s10, v5
	v_sub_u32_e32 v15, 0x3f1, v13
	v_med3_i32 v6, v14, 0, 13
	v_and_or_b32 v10, v12, s10, v10
	v_or_b32_e32 v14, 0x1000, v5
	v_add_u32_e32 v8, 0xfffffc10, v8
	v_med3_i32 v12, v15, 0, 13
	v_cmp_ne_u32_e32 vcc, 0, v5
	v_or_b32_e32 v16, 0x1000, v10
	v_lshrrev_b32_e32 v18, v6, v14
	v_add_u32_e32 v13, 0xfffffc10, v13
	v_lshl_or_b32 v15, v8, 12, v5
	v_cndmask_b32_e64 v5, 0, 1, vcc
	v_cmp_ne_u32_e32 vcc, 0, v10
	v_lshrrev_b32_e32 v19, v12, v16
	v_lshlrev_b32_e32 v6, v6, v18
	v_lshl_or_b32 v17, v13, 12, v10
	v_cndmask_b32_e64 v10, 0, 1, vcc
	v_lshlrev_b32_e32 v12, v12, v19
	v_cmp_ne_u32_e32 vcc, v6, v14
	v_cndmask_b32_e64 v6, 0, 1, vcc
	v_cmp_ne_u32_e32 vcc, v12, v16
	v_cndmask_b32_e64 v12, 0, 1, vcc
	v_or_b32_e32 v6, v18, v6
	v_cmp_gt_i32_e32 vcc, 1, v8
	v_cndmask_b32_e32 v6, v15, v6, vcc
	v_or_b32_e32 v12, v19, v12
	v_cmp_gt_i32_e32 vcc, 1, v13
	v_and_b32_e32 v14, 7, v6
	v_cndmask_b32_e32 v12, v17, v12, vcc
	v_cmp_lt_i32_e32 vcc, 5, v14
	v_cmp_eq_u32_e64 s[0:1], 3, v14
	v_lshrrev_b32_e32 v6, 2, v6
	v_and_b32_e32 v15, 7, v12
	s_or_b64 vcc, s[0:1], vcc
	v_cmp_lt_i32_e64 s[2:3], 5, v15
	v_cmp_eq_u32_e64 s[4:5], 3, v15
	v_addc_co_u32_e32 v6, vcc, 0, v6, vcc
	v_lshrrev_b32_e32 v12, 2, v12
	s_or_b64 vcc, s[4:5], s[2:3]
	v_addc_co_u32_e32 v12, vcc, 0, v12, vcc
	v_cmp_gt_i32_e32 vcc, 31, v8
	v_cndmask_b32_e32 v6, v0, v6, vcc
	v_cmp_gt_i32_e32 vcc, 31, v13
	v_lshl_or_b32 v5, v5, 9, v0
	v_cndmask_b32_e32 v12, v0, v12, vcc
	v_cmp_eq_u32_e32 vcc, s18, v8
	v_lshrrev_b32_e32 v9, 16, v9
	v_lshl_or_b32 v10, v10, 9, v0
	v_cndmask_b32_e32 v5, v6, v5, vcc
	v_cmp_eq_u32_e32 vcc, s18, v13
	v_lshrrev_b32_e32 v11, 16, v11
	v_cndmask_b32_e32 v6, v12, v10, vcc
	v_and_or_b32 v5, v9, s17, v5
	v_and_or_b32 v6, v11, s17, v6
	v_and_b32_e32 v5, 0xffff, v5
	v_lshl_or_b32 v5, v6, 16, v5
	global_store_dword v[3:4], v5, off
	global_load_dword v5, v43, s[6:7] offset:4032
	v_lshrrev_b32_e32 v6, 16, v7
	v_mov_b32_e32 v8, s7
	s_movk_i32 s0, 0x1000
	v_mov_b32_e32 v11, s12
	s_waitcnt vmcnt(0)
	v_mul_f16_sdwa v9, v6, v5 dst_sel:DWORD dst_unused:UNUSED_PAD src0_sel:DWORD src1_sel:WORD_1
	v_fma_f16 v9, v7, v5, v9
	v_mul_f16_sdwa v7, v7, v5 dst_sel:DWORD dst_unused:UNUSED_PAD src0_sel:DWORD src1_sel:WORD_1
	v_cvt_f32_f16_e32 v9, v9
	v_fma_f16 v5, v5, v6, -v7
	v_cvt_f32_f16_e32 v7, v5
	v_cvt_f64_f32_e32 v[5:6], v9
	v_add_co_u32_e32 v9, vcc, s6, v43
	v_addc_co_u32_e32 v10, vcc, 0, v8, vcc
	v_cvt_f64_f32_e32 v[7:8], v7
	v_mul_f64 v[5:6], v[5:6], s[14:15]
	v_add_co_u32_e32 v9, vcc, s0, v9
	v_mul_f64 v[7:8], v[7:8], s[14:15]
	v_addc_co_u32_e32 v10, vcc, 0, v10, vcc
	v_add_co_u32_e32 v3, vcc, s11, v3
	v_addc_co_u32_e32 v4, vcc, v4, v11, vcc
	v_and_or_b32 v5, v6, s16, v5
	v_and_or_b32 v7, v8, s16, v7
	v_cmp_ne_u32_e32 vcc, 0, v5
	v_lshrrev_b32_e32 v11, 8, v6
	v_bfe_u32 v12, v6, 20, 11
	v_cndmask_b32_e64 v5, 0, 1, vcc
	v_cmp_ne_u32_e32 vcc, 0, v7
	v_lshrrev_b32_e32 v13, 8, v8
	v_bfe_u32 v14, v8, 20, 11
	v_sub_u32_e32 v15, 0x3f1, v12
	v_cndmask_b32_e64 v7, 0, 1, vcc
	v_and_or_b32 v5, v11, s10, v5
	v_sub_u32_e32 v16, 0x3f1, v14
	v_med3_i32 v11, v15, 0, 13
	v_and_or_b32 v7, v13, s10, v7
	v_or_b32_e32 v15, 0x1000, v5
	v_add_u32_e32 v12, 0xfffffc10, v12
	v_med3_i32 v13, v16, 0, 13
	v_cmp_ne_u32_e32 vcc, 0, v5
	v_or_b32_e32 v17, 0x1000, v7
	v_lshrrev_b32_e32 v19, v11, v15
	v_add_u32_e32 v14, 0xfffffc10, v14
	v_lshl_or_b32 v16, v12, 12, v5
	v_cndmask_b32_e64 v5, 0, 1, vcc
	v_cmp_ne_u32_e32 vcc, 0, v7
	v_lshrrev_b32_e32 v20, v13, v17
	v_lshlrev_b32_e32 v11, v11, v19
	v_lshl_or_b32 v18, v14, 12, v7
	v_cndmask_b32_e64 v7, 0, 1, vcc
	v_lshlrev_b32_e32 v13, v13, v20
	v_cmp_ne_u32_e32 vcc, v11, v15
	v_cndmask_b32_e64 v11, 0, 1, vcc
	v_cmp_ne_u32_e32 vcc, v13, v17
	v_cndmask_b32_e64 v13, 0, 1, vcc
	v_or_b32_e32 v11, v19, v11
	v_cmp_gt_i32_e32 vcc, 1, v12
	v_cndmask_b32_e32 v11, v16, v11, vcc
	v_or_b32_e32 v13, v20, v13
	v_cmp_gt_i32_e32 vcc, 1, v14
	v_and_b32_e32 v15, 7, v11
	v_cndmask_b32_e32 v13, v18, v13, vcc
	v_cmp_lt_i32_e32 vcc, 5, v15
	v_cmp_eq_u32_e64 s[0:1], 3, v15
	v_lshrrev_b32_e32 v11, 2, v11
	v_and_b32_e32 v16, 7, v13
	s_or_b64 vcc, s[0:1], vcc
	v_cmp_lt_i32_e64 s[2:3], 5, v16
	v_cmp_eq_u32_e64 s[4:5], 3, v16
	v_addc_co_u32_e32 v11, vcc, 0, v11, vcc
	v_lshrrev_b32_e32 v13, 2, v13
	s_or_b64 vcc, s[4:5], s[2:3]
	v_addc_co_u32_e32 v13, vcc, 0, v13, vcc
	v_cmp_gt_i32_e32 vcc, 31, v12
	v_cndmask_b32_e32 v11, v0, v11, vcc
	v_cmp_gt_i32_e32 vcc, 31, v14
	v_lshl_or_b32 v5, v5, 9, v0
	v_cndmask_b32_e32 v13, v0, v13, vcc
	v_cmp_eq_u32_e32 vcc, s18, v12
	v_lshrrev_b32_e32 v6, 16, v6
	v_lshl_or_b32 v7, v7, 9, v0
	v_cndmask_b32_e32 v5, v11, v5, vcc
	v_cmp_eq_u32_e32 vcc, s18, v14
	v_lshrrev_b32_e32 v8, 16, v8
	v_cndmask_b32_e32 v7, v13, v7, vcc
	v_and_or_b32 v5, v6, s17, v5
	v_and_or_b32 v6, v8, s17, v7
	v_and_b32_e32 v5, 0xffff, v5
	v_lshl_or_b32 v5, v6, 16, v5
	global_store_dword v[3:4], v5, off
	global_load_dword v7, v[9:10], off offset:224
	v_add_u32_e32 v5, 0x1000, v44
	ds_read2_b32 v[5:6], v5 offset0:56 offset1:128
	v_mov_b32_e32 v12, s12
	v_add_co_u32_e32 v3, vcc, s11, v3
	v_addc_co_u32_e32 v4, vcc, v4, v12, vcc
	s_waitcnt lgkmcnt(0)
	v_lshrrev_b32_e32 v8, 16, v5
	v_or_b32_e32 v11, 0x480, v42
	s_waitcnt vmcnt(0)
	v_mul_f16_sdwa v9, v8, v7 dst_sel:DWORD dst_unused:UNUSED_PAD src0_sel:DWORD src1_sel:WORD_1
	v_fma_f16 v9, v5, v7, v9
	v_mul_f16_sdwa v5, v5, v7 dst_sel:DWORD dst_unused:UNUSED_PAD src0_sel:DWORD src1_sel:WORD_1
	v_cvt_f32_f16_e32 v9, v9
	v_fma_f16 v5, v7, v8, -v5
	v_cvt_f32_f16_e32 v5, v5
	v_cvt_f64_f32_e32 v[7:8], v9
	v_cvt_f64_f32_e32 v[9:10], v5
	v_lshlrev_b32_e32 v5, 2, v11
	v_mul_f64 v[7:8], v[7:8], s[14:15]
	v_mul_f64 v[9:10], v[9:10], s[14:15]
	v_and_or_b32 v7, v8, s16, v7
	v_cmp_ne_u32_e32 vcc, 0, v7
	v_and_or_b32 v9, v10, s16, v9
	v_lshrrev_b32_e32 v12, 8, v8
	v_bfe_u32 v13, v8, 20, 11
	v_cndmask_b32_e64 v7, 0, 1, vcc
	v_cmp_ne_u32_e32 vcc, 0, v9
	v_lshrrev_b32_e32 v14, 8, v10
	v_bfe_u32 v15, v10, 20, 11
	v_sub_u32_e32 v16, 0x3f1, v13
	v_cndmask_b32_e64 v9, 0, 1, vcc
	v_and_or_b32 v7, v12, s10, v7
	v_sub_u32_e32 v17, 0x3f1, v15
	v_med3_i32 v12, v16, 0, 13
	v_and_or_b32 v9, v14, s10, v9
	v_or_b32_e32 v16, 0x1000, v7
	v_add_u32_e32 v13, 0xfffffc10, v13
	v_med3_i32 v14, v17, 0, 13
	v_cmp_ne_u32_e32 vcc, 0, v7
	v_or_b32_e32 v18, 0x1000, v9
	v_lshrrev_b32_e32 v20, v12, v16
	v_add_u32_e32 v15, 0xfffffc10, v15
	v_lshl_or_b32 v17, v13, 12, v7
	v_cndmask_b32_e64 v7, 0, 1, vcc
	v_cmp_ne_u32_e32 vcc, 0, v9
	v_lshrrev_b32_e32 v21, v14, v18
	v_lshlrev_b32_e32 v12, v12, v20
	v_lshl_or_b32 v19, v15, 12, v9
	v_cndmask_b32_e64 v9, 0, 1, vcc
	v_lshlrev_b32_e32 v14, v14, v21
	v_cmp_ne_u32_e32 vcc, v12, v16
	v_cndmask_b32_e64 v12, 0, 1, vcc
	v_cmp_ne_u32_e32 vcc, v14, v18
	v_cndmask_b32_e64 v14, 0, 1, vcc
	v_or_b32_e32 v12, v20, v12
	v_cmp_gt_i32_e32 vcc, 1, v13
	v_cndmask_b32_e32 v12, v17, v12, vcc
	v_or_b32_e32 v14, v21, v14
	v_cmp_gt_i32_e32 vcc, 1, v15
	v_and_b32_e32 v16, 7, v12
	v_cndmask_b32_e32 v14, v19, v14, vcc
	v_cmp_lt_i32_e32 vcc, 5, v16
	v_cmp_eq_u32_e64 s[0:1], 3, v16
	v_lshrrev_b32_e32 v12, 2, v12
	v_and_b32_e32 v17, 7, v14
	s_or_b64 vcc, s[0:1], vcc
	v_cmp_lt_i32_e64 s[2:3], 5, v17
	v_cmp_eq_u32_e64 s[4:5], 3, v17
	v_addc_co_u32_e32 v12, vcc, 0, v12, vcc
	v_lshrrev_b32_e32 v14, 2, v14
	s_or_b64 vcc, s[4:5], s[2:3]
	v_addc_co_u32_e32 v14, vcc, 0, v14, vcc
	v_cmp_gt_i32_e32 vcc, 31, v13
	v_cndmask_b32_e32 v12, v0, v12, vcc
	v_cmp_gt_i32_e32 vcc, 31, v15
	v_lshl_or_b32 v7, v7, 9, v0
	v_cndmask_b32_e32 v14, v0, v14, vcc
	v_cmp_eq_u32_e32 vcc, s18, v13
	v_lshrrev_b32_e32 v8, 16, v8
	v_lshl_or_b32 v9, v9, 9, v0
	v_cndmask_b32_e32 v7, v12, v7, vcc
	v_cmp_eq_u32_e32 vcc, s18, v15
	v_lshrrev_b32_e32 v10, 16, v10
	v_cndmask_b32_e32 v9, v14, v9, vcc
	v_and_or_b32 v7, v8, s17, v7
	v_and_or_b32 v8, v10, s17, v9
	v_and_b32_e32 v7, 0xffff, v7
	v_lshl_or_b32 v7, v8, 16, v7
	global_store_dword v[3:4], v7, off
	global_load_dword v5, v5, s[6:7]
	v_lshrrev_b32_e32 v7, 16, v6
	v_mad_u64_u32 v[3:4], s[0:1], s8, v11, 0
	s_waitcnt vmcnt(0)
	v_mul_f16_sdwa v8, v7, v5 dst_sel:DWORD dst_unused:UNUSED_PAD src0_sel:DWORD src1_sel:WORD_1
	v_fma_f16 v8, v6, v5, v8
	v_cvt_f32_f16_e32 v8, v8
	v_mul_f16_sdwa v6, v6, v5 dst_sel:DWORD dst_unused:UNUSED_PAD src0_sel:DWORD src1_sel:WORD_1
	v_fma_f16 v5, v5, v7, -v6
	v_cvt_f32_f16_e32 v7, v5
	v_cvt_f64_f32_e32 v[5:6], v8
	v_cvt_f64_f32_e32 v[7:8], v7
	v_mul_f64 v[5:6], v[5:6], s[14:15]
	v_mul_f64 v[7:8], v[7:8], s[14:15]
	v_mad_u64_u32 v[9:10], s[0:1], s9, v11, v[4:5]
	v_and_or_b32 v5, v6, s16, v5
	v_and_or_b32 v7, v8, s16, v7
	v_cmp_ne_u32_e32 vcc, 0, v5
	v_mov_b32_e32 v4, v9
	v_lshrrev_b32_e32 v9, 8, v6
	v_bfe_u32 v10, v6, 20, 11
	v_cndmask_b32_e64 v5, 0, 1, vcc
	v_cmp_ne_u32_e32 vcc, 0, v7
	v_lshrrev_b32_e32 v11, 8, v8
	v_bfe_u32 v12, v8, 20, 11
	v_sub_u32_e32 v13, 0x3f1, v10
	v_cndmask_b32_e64 v7, 0, 1, vcc
	v_and_or_b32 v5, v9, s10, v5
	v_sub_u32_e32 v14, 0x3f1, v12
	v_med3_i32 v9, v13, 0, 13
	v_and_or_b32 v7, v11, s10, v7
	v_or_b32_e32 v13, 0x1000, v5
	v_add_u32_e32 v10, 0xfffffc10, v10
	v_med3_i32 v11, v14, 0, 13
	v_cmp_ne_u32_e32 vcc, 0, v5
	v_or_b32_e32 v15, 0x1000, v7
	v_lshrrev_b32_e32 v17, v9, v13
	v_add_u32_e32 v12, 0xfffffc10, v12
	v_lshl_or_b32 v14, v10, 12, v5
	v_cndmask_b32_e64 v5, 0, 1, vcc
	v_cmp_ne_u32_e32 vcc, 0, v7
	v_lshrrev_b32_e32 v18, v11, v15
	v_lshlrev_b32_e32 v9, v9, v17
	v_lshl_or_b32 v16, v12, 12, v7
	v_cndmask_b32_e64 v7, 0, 1, vcc
	v_lshlrev_b32_e32 v11, v11, v18
	v_cmp_ne_u32_e32 vcc, v9, v13
	v_cndmask_b32_e64 v9, 0, 1, vcc
	v_cmp_ne_u32_e32 vcc, v11, v15
	v_cndmask_b32_e64 v11, 0, 1, vcc
	v_or_b32_e32 v9, v17, v9
	v_cmp_gt_i32_e32 vcc, 1, v10
	v_cndmask_b32_e32 v9, v14, v9, vcc
	v_or_b32_e32 v11, v18, v11
	v_cmp_gt_i32_e32 vcc, 1, v12
	v_and_b32_e32 v13, 7, v9
	v_cndmask_b32_e32 v11, v16, v11, vcc
	v_cmp_lt_i32_e32 vcc, 5, v13
	v_cmp_eq_u32_e64 s[0:1], 3, v13
	v_lshrrev_b32_e32 v9, 2, v9
	v_and_b32_e32 v14, 7, v11
	s_or_b64 vcc, s[0:1], vcc
	v_cmp_lt_i32_e64 s[2:3], 5, v14
	v_cmp_eq_u32_e64 s[4:5], 3, v14
	v_addc_co_u32_e32 v9, vcc, 0, v9, vcc
	v_lshrrev_b32_e32 v11, 2, v11
	s_or_b64 vcc, s[4:5], s[2:3]
	v_addc_co_u32_e32 v11, vcc, 0, v11, vcc
	v_cmp_gt_i32_e32 vcc, 31, v10
	v_cndmask_b32_e32 v9, v0, v9, vcc
	v_cmp_gt_i32_e32 vcc, 31, v12
	v_lshl_or_b32 v5, v5, 9, v0
	v_lshl_or_b32 v7, v7, 9, v0
	v_cndmask_b32_e32 v0, v0, v11, vcc
	v_cmp_eq_u32_e32 vcc, s18, v10
	v_lshrrev_b32_e32 v6, 16, v6
	v_cndmask_b32_e32 v5, v9, v5, vcc
	v_cmp_eq_u32_e32 vcc, s18, v12
	v_lshlrev_b64 v[3:4], 2, v[3:4]
	v_lshrrev_b32_e32 v8, 16, v8
	v_cndmask_b32_e32 v0, v0, v7, vcc
	v_and_or_b32 v5, v6, s17, v5
	v_and_or_b32 v0, v8, s17, v0
	v_and_b32_e32 v5, 0xffff, v5
	v_lshl_or_b32 v5, v0, 16, v5
	v_add_co_u32_e32 v0, vcc, v1, v3
	v_addc_co_u32_e32 v1, vcc, v2, v4, vcc
	global_store_dword v[0:1], v5, off
.LBB0_15:
	s_endpgm
	.section	.rodata,"a",@progbits
	.p2align	6, 0x0
	.amdhsa_kernel bluestein_single_back_len1224_dim1_half_op_CI_CI
		.amdhsa_group_segment_fixed_size 9792
		.amdhsa_private_segment_fixed_size 0
		.amdhsa_kernarg_size 104
		.amdhsa_user_sgpr_count 6
		.amdhsa_user_sgpr_private_segment_buffer 1
		.amdhsa_user_sgpr_dispatch_ptr 0
		.amdhsa_user_sgpr_queue_ptr 0
		.amdhsa_user_sgpr_kernarg_segment_ptr 1
		.amdhsa_user_sgpr_dispatch_id 0
		.amdhsa_user_sgpr_flat_scratch_init 0
		.amdhsa_user_sgpr_private_segment_size 0
		.amdhsa_uses_dynamic_stack 0
		.amdhsa_system_sgpr_private_segment_wavefront_offset 0
		.amdhsa_system_sgpr_workgroup_id_x 1
		.amdhsa_system_sgpr_workgroup_id_y 0
		.amdhsa_system_sgpr_workgroup_id_z 0
		.amdhsa_system_sgpr_workgroup_info 0
		.amdhsa_system_vgpr_workitem_id 0
		.amdhsa_next_free_vgpr 232
		.amdhsa_next_free_sgpr 48
		.amdhsa_reserve_vcc 1
		.amdhsa_reserve_flat_scratch 0
		.amdhsa_float_round_mode_32 0
		.amdhsa_float_round_mode_16_64 0
		.amdhsa_float_denorm_mode_32 3
		.amdhsa_float_denorm_mode_16_64 3
		.amdhsa_dx10_clamp 1
		.amdhsa_ieee_mode 1
		.amdhsa_fp16_overflow 0
		.amdhsa_exception_fp_ieee_invalid_op 0
		.amdhsa_exception_fp_denorm_src 0
		.amdhsa_exception_fp_ieee_div_zero 0
		.amdhsa_exception_fp_ieee_overflow 0
		.amdhsa_exception_fp_ieee_underflow 0
		.amdhsa_exception_fp_ieee_inexact 0
		.amdhsa_exception_int_div_zero 0
	.end_amdhsa_kernel
	.text
.Lfunc_end0:
	.size	bluestein_single_back_len1224_dim1_half_op_CI_CI, .Lfunc_end0-bluestein_single_back_len1224_dim1_half_op_CI_CI
                                        ; -- End function
	.section	.AMDGPU.csdata,"",@progbits
; Kernel info:
; codeLenInByte = 28440
; NumSgprs: 52
; NumVgprs: 232
; ScratchSize: 0
; MemoryBound: 0
; FloatMode: 240
; IeeeMode: 1
; LDSByteSize: 9792 bytes/workgroup (compile time only)
; SGPRBlocks: 6
; VGPRBlocks: 57
; NumSGPRsForWavesPerEU: 52
; NumVGPRsForWavesPerEU: 232
; Occupancy: 1
; WaveLimiterHint : 1
; COMPUTE_PGM_RSRC2:SCRATCH_EN: 0
; COMPUTE_PGM_RSRC2:USER_SGPR: 6
; COMPUTE_PGM_RSRC2:TRAP_HANDLER: 0
; COMPUTE_PGM_RSRC2:TGID_X_EN: 1
; COMPUTE_PGM_RSRC2:TGID_Y_EN: 0
; COMPUTE_PGM_RSRC2:TGID_Z_EN: 0
; COMPUTE_PGM_RSRC2:TIDIG_COMP_CNT: 0
	.type	__hip_cuid_83f1a47c0d7b607d,@object ; @__hip_cuid_83f1a47c0d7b607d
	.section	.bss,"aw",@nobits
	.globl	__hip_cuid_83f1a47c0d7b607d
__hip_cuid_83f1a47c0d7b607d:
	.byte	0                               ; 0x0
	.size	__hip_cuid_83f1a47c0d7b607d, 1

	.ident	"AMD clang version 19.0.0git (https://github.com/RadeonOpenCompute/llvm-project roc-6.4.0 25133 c7fe45cf4b819c5991fe208aaa96edf142730f1d)"
	.section	".note.GNU-stack","",@progbits
	.addrsig
	.addrsig_sym __hip_cuid_83f1a47c0d7b607d
	.amdgpu_metadata
---
amdhsa.kernels:
  - .args:
      - .actual_access:  read_only
        .address_space:  global
        .offset:         0
        .size:           8
        .value_kind:     global_buffer
      - .actual_access:  read_only
        .address_space:  global
        .offset:         8
        .size:           8
        .value_kind:     global_buffer
      - .actual_access:  read_only
        .address_space:  global
        .offset:         16
        .size:           8
        .value_kind:     global_buffer
      - .actual_access:  read_only
        .address_space:  global
        .offset:         24
        .size:           8
        .value_kind:     global_buffer
      - .actual_access:  read_only
        .address_space:  global
        .offset:         32
        .size:           8
        .value_kind:     global_buffer
      - .offset:         40
        .size:           8
        .value_kind:     by_value
      - .address_space:  global
        .offset:         48
        .size:           8
        .value_kind:     global_buffer
      - .address_space:  global
        .offset:         56
        .size:           8
        .value_kind:     global_buffer
      - .address_space:  global
        .offset:         64
        .size:           8
        .value_kind:     global_buffer
      - .address_space:  global
        .offset:         72
        .size:           8
        .value_kind:     global_buffer
      - .offset:         80
        .size:           4
        .value_kind:     by_value
      - .address_space:  global
        .offset:         88
        .size:           8
        .value_kind:     global_buffer
      - .address_space:  global
        .offset:         96
        .size:           8
        .value_kind:     global_buffer
    .group_segment_fixed_size: 9792
    .kernarg_segment_align: 8
    .kernarg_segment_size: 104
    .language:       OpenCL C
    .language_version:
      - 2
      - 0
    .max_flat_workgroup_size: 204
    .name:           bluestein_single_back_len1224_dim1_half_op_CI_CI
    .private_segment_fixed_size: 0
    .sgpr_count:     52
    .sgpr_spill_count: 0
    .symbol:         bluestein_single_back_len1224_dim1_half_op_CI_CI.kd
    .uniform_work_group_size: 1
    .uses_dynamic_stack: false
    .vgpr_count:     232
    .vgpr_spill_count: 0
    .wavefront_size: 64
amdhsa.target:   amdgcn-amd-amdhsa--gfx906
amdhsa.version:
  - 1
  - 2
...

	.end_amdgpu_metadata
